;; amdgpu-corpus repo=ROCm/rocFFT kind=compiled arch=gfx950 opt=O3
	.text
	.amdgcn_target "amdgcn-amd-amdhsa--gfx950"
	.amdhsa_code_object_version 6
	.protected	bluestein_single_fwd_len102_dim1_sp_op_CI_CI ; -- Begin function bluestein_single_fwd_len102_dim1_sp_op_CI_CI
	.globl	bluestein_single_fwd_len102_dim1_sp_op_CI_CI
	.p2align	8
	.type	bluestein_single_fwd_len102_dim1_sp_op_CI_CI,@function
bluestein_single_fwd_len102_dim1_sp_op_CI_CI: ; @bluestein_single_fwd_len102_dim1_sp_op_CI_CI
; %bb.0:
	s_load_dwordx4 s[8:11], s[0:1], 0x28
	v_mul_u32_u24_e32 v1, 0xf10, v0
	v_lshrrev_b32_e32 v2, 16, v1
	v_mad_u64_u32 v[224:225], s[2:3], s2, 7, v[2:3]
	v_mov_b32_e32 v225, 0
	s_waitcnt lgkmcnt(0)
	v_cmp_gt_u64_e32 vcc, s[8:9], v[224:225]
	s_and_saveexec_b64 s[2:3], vcc
	s_cbranch_execz .LBB0_15
; %bb.1:
	v_mul_lo_u16_e32 v1, 17, v2
	s_mov_b32 s2, 0x24924925
	v_sub_u16_e32 v225, v0, v1
	v_mul_hi_u32 v0, v224, s2
	v_sub_u32_e32 v1, v224, v0
	v_lshrrev_b32_e32 v1, 1, v1
	v_add_u32_e32 v0, v1, v0
	v_lshrrev_b32_e32 v0, 2, v0
	v_mul_lo_u32 v0, v0, 7
	v_sub_u32_e32 v0, v224, v0
	s_load_dwordx2 s[8:9], s[0:1], 0x0
	s_load_dwordx2 s[12:13], s[0:1], 0x38
	v_mul_u32_u24_e32 v210, 0x66, v0
	v_lshlrev_b32_e32 v0, 3, v210
	v_accvgpr_write_b32 a3, v0
	v_or_b32_e32 v0, 24, v225
	v_accvgpr_write_b32 a2, v0
	v_or_b32_e32 v0, 48, v225
	v_cmp_gt_u16_e32 vcc, 6, v225
	v_lshlrev_b32_e32 v211, 3, v225
	v_accvgpr_write_b32 a1, v0
	s_and_saveexec_b64 s[2:3], vcc
	s_cbranch_execz .LBB0_3
; %bb.2:
	s_load_dwordx2 s[4:5], s[0:1], 0x18
	v_mov_b32_e32 v0, s10
	v_mov_b32_e32 v1, s11
	v_accvgpr_read_b32 v33, a1
	v_or_b32_e32 v35, 0x48, v225
	s_waitcnt lgkmcnt(0)
	s_load_dwordx4 s[4:7], s[4:5], 0x0
	v_mov_b32_e32 v52, 0x60
	s_waitcnt lgkmcnt(0)
	v_mad_u64_u32 v[2:3], s[10:11], s6, v224, 0
	v_mad_u64_u32 v[4:5], s[10:11], s4, v225, 0
	v_mov_b32_e32 v6, v3
	v_mov_b32_e32 v8, v5
	v_mad_u64_u32 v[6:7], s[6:7], s7, v224, v[6:7]
	v_mov_b32_e32 v3, v6
	v_mad_u64_u32 v[6:7], s[6:7], s5, v225, v[8:9]
	v_mov_b32_e32 v5, v6
	v_lshl_add_u64 v[0:1], v[2:3], 3, v[0:1]
	v_lshl_add_u64 v[16:17], v[4:5], 3, v[0:1]
	v_accvgpr_read_b32 v5, a2
	v_mad_u64_u32 v[2:3], s[6:7], s4, v5, 0
	v_mov_b32_e32 v4, v3
	v_mad_u64_u32 v[4:5], s[6:7], s5, v5, v[4:5]
	v_mad_u64_u32 v[6:7], s[6:7], s4, 48, v[16:17]
	s_mul_i32 s6, s5, 48
	s_nop 0
	v_add_u32_e32 v7, s6, v7
	v_mad_u64_u32 v[8:9], s[10:11], s4, 48, v[6:7]
	v_mov_b32_e32 v3, v4
	v_add_u32_e32 v9, s6, v9
	v_lshl_add_u64 v[18:19], v[2:3], 3, v[0:1]
	global_load_dwordx2 v[4:5], v[6:7], off
	global_load_dwordx2 v[2:3], v[8:9], off
	v_mad_u64_u32 v[20:21], s[10:11], s4, 48, v[8:9]
	global_load_dwordx2 v[12:13], v211, s[8:9]
	global_load_dwordx2 v[10:11], v211, s[8:9] offset:48
	global_load_dwordx2 v[8:9], v211, s[8:9] offset:96
	;; [unrolled: 1-line block ×7, first 2 shown]
	global_load_dwordx2 v[28:29], v[16:17], off
	global_load_dwordx2 v[30:31], v[18:19], off
	v_mad_u64_u32 v[16:17], s[10:11], s4, v33, 0
	v_mad_u64_u32 v[18:19], s[10:11], s4, v35, 0
	v_mov_b32_e32 v32, v17
	v_mov_b32_e32 v34, v19
	v_mad_u64_u32 v[32:33], s[10:11], s5, v33, v[32:33]
	v_mad_u64_u32 v[34:35], s[10:11], s5, v35, v[34:35]
	v_mov_b32_e32 v17, v32
	v_add_u32_e32 v21, s6, v21
	v_mov_b32_e32 v19, v34
	v_lshl_add_u64 v[16:17], v[16:17], 3, v[0:1]
	s_mul_i32 s7, s5, 0x60
	v_lshl_add_u64 v[18:19], v[18:19], 3, v[0:1]
	global_load_dwordx2 v[32:33], v[16:17], off
	global_load_dwordx2 v[34:35], v[18:19], off
	;; [unrolled: 1-line block ×3, first 2 shown]
	v_mad_u64_u32 v[16:17], s[10:11], s4, v52, v[20:21]
	v_add_u32_e32 v17, s7, v17
	global_load_dwordx2 v[18:19], v[16:17], off
	v_mad_u64_u32 v[16:17], s[10:11], s4, 48, v[16:17]
	v_add_u32_e32 v17, s6, v17
	global_load_dwordx2 v[20:21], v[16:17], off
	;; [unrolled: 3-line block ×4, first 2 shown]
	global_load_dwordx2 v[42:43], v211, s[8:9] offset:384
	v_mad_u64_u32 v[16:17], s[10:11], s4, 48, v[16:17]
	v_add_u32_e32 v17, s6, v17
	global_load_dwordx2 v[44:45], v[16:17], off
	global_load_dwordx2 v[46:47], v211, s[8:9] offset:432
	v_mad_u64_u32 v[16:17], s[10:11], s4, 48, v[16:17]
	v_add_u32_e32 v17, s6, v17
	global_load_dwordx2 v[48:49], v[16:17], off
	global_load_dwordx2 v[50:51], v211, s[8:9] offset:480
	global_load_dwordx2 v[54:55], v211, s[8:9] offset:528
	v_mad_u64_u32 v[16:17], s[10:11], s4, v52, v[16:17]
	v_or_b32_e32 v52, 0x60, v225
	v_add_u32_e32 v17, s7, v17
	v_mad_u64_u32 v[62:63], s[10:11], s4, v52, 0
	global_load_dwordx2 v[56:57], v[16:17], off
	v_mad_u64_u32 v[16:17], s[10:11], s4, 48, v[16:17]
	v_mov_b32_e32 v66, v63
	v_add_u32_e32 v17, s6, v17
	global_load_dwordx2 v[58:59], v211, s[8:9] offset:576
	global_load_dwordx2 v[60:61], v[16:17], off
	v_mad_u64_u32 v[66:67], s[10:11], s5, v52, v[66:67]
	global_load_dwordx2 v[64:65], v211, s[8:9] offset:624
	global_load_dwordx2 v[68:69], v211, s[8:9] offset:672
	v_mad_u64_u32 v[16:17], s[4:5], s4, 48, v[16:17]
	v_mov_b32_e32 v63, v66
	v_add_u32_e32 v17, s6, v17
	v_lshl_add_u64 v[0:1], v[62:63], 3, v[0:1]
	global_load_dwordx2 v[70:71], v[16:17], off
	global_load_dwordx2 v[72:73], v211, s[8:9] offset:720
	s_nop 0
	global_load_dwordx2 v[16:17], v[0:1], off
	global_load_dwordx2 v[62:63], v211, s[8:9] offset:768
	v_accvgpr_read_b32 v0, a3
	v_lshl_add_u32 v52, v225, 3, v0
	v_add_u32_e32 v53, v0, v211
	s_waitcnt vmcnt(23)
	v_mul_f32_e32 v0, v29, v13
	v_mul_f32_e32 v1, v28, v13
	v_fmac_f32_e32 v0, v28, v12
	v_fma_f32 v1, v29, v12, -v1
	ds_write_b64 v52, v[0:1]
	v_mul_f32_e32 v0, v5, v11
	v_mul_f32_e32 v1, v4, v11
	v_fmac_f32_e32 v0, v4, v10
	v_fma_f32 v1, v5, v10, -v1
	v_mul_f32_e32 v4, v3, v9
	v_mul_f32_e32 v5, v2, v9
	v_fmac_f32_e32 v4, v2, v8
	v_fma_f32 v5, v3, v8, -v5
	s_waitcnt vmcnt(22)
	v_mul_f32_e32 v66, v31, v23
	v_mul_f32_e32 v13, v30, v23
	ds_write2_b64 v53, v[0:1], v[4:5] offset0:6 offset1:12
	v_fmac_f32_e32 v66, v30, v22
	v_fma_f32 v67, v31, v22, -v13
	s_waitcnt vmcnt(19)
	v_mul_f32_e32 v0, v37, v7
	v_mul_f32_e32 v1, v36, v7
	v_fmac_f32_e32 v0, v36, v6
	v_fma_f32 v1, v37, v6, -v1
	ds_write2_b64 v53, v[0:1], v[66:67] offset0:18 offset1:24
	s_waitcnt vmcnt(18)
	v_mul_f32_e32 v0, v19, v15
	v_mul_f32_e32 v1, v18, v15
	v_fmac_f32_e32 v0, v18, v14
	s_waitcnt vmcnt(17)
	v_mul_f32_e32 v2, v21, v25
	v_mul_f32_e32 v3, v20, v25
	v_fma_f32 v1, v19, v14, -v1
	v_fmac_f32_e32 v2, v20, v24
	v_fma_f32 v3, v21, v24, -v3
	ds_write2_b64 v53, v[0:1], v[2:3] offset0:30 offset1:36
	s_waitcnt vmcnt(16)
	v_mul_f32_e32 v0, v39, v27
	v_mul_f32_e32 v1, v38, v27
	s_waitcnt vmcnt(14)
	v_mul_f32_e32 v2, v33, v43
	v_mul_f32_e32 v3, v32, v43
	v_fmac_f32_e32 v0, v38, v26
	v_fma_f32 v1, v39, v26, -v1
	v_fmac_f32_e32 v2, v32, v42
	v_fma_f32 v3, v33, v42, -v3
	ds_write2_b64 v53, v[0:1], v[2:3] offset0:42 offset1:48
	s_waitcnt vmcnt(12)
	v_mul_f32_e32 v0, v41, v47
	v_mul_f32_e32 v1, v40, v47
	s_waitcnt vmcnt(10)
	v_mul_f32_e32 v2, v45, v51
	v_mul_f32_e32 v3, v44, v51
	v_fmac_f32_e32 v0, v40, v46
	v_fma_f32 v1, v41, v46, -v1
	v_fmac_f32_e32 v2, v44, v50
	v_fma_f32 v3, v45, v50, -v3
	ds_write2_b64 v53, v[0:1], v[2:3] offset0:54 offset1:60
	s_waitcnt vmcnt(9)
	v_mul_f32_e32 v0, v49, v55
	v_mul_f32_e32 v1, v48, v55
	v_fmac_f32_e32 v0, v48, v54
	s_waitcnt vmcnt(7)
	v_mul_f32_e32 v2, v35, v59
	v_mul_f32_e32 v3, v34, v59
	v_fma_f32 v1, v49, v54, -v1
	v_fmac_f32_e32 v2, v34, v58
	v_fma_f32 v3, v35, v58, -v3
	ds_write2_b64 v53, v[0:1], v[2:3] offset0:66 offset1:72
	s_waitcnt vmcnt(5)
	v_mul_f32_e32 v0, v57, v65
	v_mul_f32_e32 v1, v56, v65
	s_waitcnt vmcnt(4)
	v_mul_f32_e32 v2, v61, v69
	v_mul_f32_e32 v3, v60, v69
	v_fmac_f32_e32 v0, v56, v64
	v_fma_f32 v1, v57, v64, -v1
	v_fmac_f32_e32 v2, v60, v68
	v_fma_f32 v3, v61, v68, -v3
	ds_write2_b64 v53, v[0:1], v[2:3] offset0:78 offset1:84
	s_waitcnt vmcnt(2)
	v_mul_f32_e32 v0, v71, v73
	v_mul_f32_e32 v1, v70, v73
	s_waitcnt vmcnt(0)
	v_mul_f32_e32 v2, v17, v63
	v_mul_f32_e32 v3, v16, v63
	v_fmac_f32_e32 v0, v70, v72
	v_fma_f32 v1, v71, v72, -v1
	v_fmac_f32_e32 v2, v16, v62
	v_fma_f32 v3, v17, v62, -v3
	ds_write2_b64 v53, v[0:1], v[2:3] offset0:90 offset1:96
.LBB0_3:
	s_or_b64 exec, exec, s[2:3]
	s_load_dwordx2 s[2:3], s[0:1], 0x20
	s_load_dwordx2 s[4:5], s[0:1], 0x8
	v_mov_b32_e32 v0, 0
	v_mov_b32_e32 v1, 0
	s_waitcnt lgkmcnt(0)
	s_barrier
	s_waitcnt lgkmcnt(0)
                                        ; implicit-def: $vgpr6
                                        ; implicit-def: $vgpr16
                                        ; implicit-def: $vgpr14
                                        ; implicit-def: $vgpr24
                                        ; implicit-def: $vgpr22
                                        ; implicit-def: $vgpr54
                                        ; implicit-def: $vgpr34
                                        ; implicit-def: $vgpr30
	s_and_saveexec_b64 s[0:1], vcc
	s_cbranch_execz .LBB0_5
; %bb.4:
	v_lshl_add_u32 v8, v210, 3, v211
	ds_read2_b64 v[0:3], v8 offset1:6
	ds_read2_b64 v[28:31], v8 offset0:12 offset1:18
	ds_read2_b64 v[20:23], v8 offset0:24 offset1:30
	;; [unrolled: 1-line block ×7, first 2 shown]
	ds_read_b64 v[54:55], v8 offset:768
.LBB0_5:
	s_or_b64 exec, exec, s[0:1]
	s_mov_b32 s0, 0xbf2c7751
	s_waitcnt lgkmcnt(0)
	v_pk_add_f32 v[68:69], v[54:55], v[2:3]
	v_pk_add_f32 v[8:9], v[2:3], v[54:55] neg_lo:[0,1] neg_hi:[0,1]
	s_mov_b32 s1, 0x3f3d2fb0
	v_mov_b32_e32 v61, v69
	v_mov_b32_e32 v69, v8
	s_mov_b32 s6, s1
	s_mov_b32 s7, s0
	v_mov_b32_e32 v60, v9
	v_pk_mul_f32 v[8:9], v[68:69], s[6:7]
	s_mov_b32 s6, 0xbf7ee86f
	v_pk_add_f32 v[72:73], v[28:29], v[34:35] neg_lo:[0,1] neg_hi:[0,1]
	v_pk_add_f32 v[70:71], v[28:29], v[34:35]
	s_mov_b32 s7, 0x3dbcf732
	s_mov_b32 s10, 0xbf65296c
	v_mov_b32_e32 v48, v70
	v_mov_b32_e32 v49, v72
	s_mov_b32 s44, s7
	s_mov_b32 s45, s6
	s_mov_b32 s11, 0x3ee437d1
	v_accvgpr_write_b32 a6, v8
	v_pk_mul_f32 v[10:11], v[48:49], s[44:45]
	s_mov_b32 s14, s11
	s_mov_b32 s15, s10
	v_mov_b32_e32 v66, v73
	v_mov_b32_e32 v67, v71
	v_pk_fma_f32 v[36:37], v[60:61], s[0:1], v[8:9]
	v_accvgpr_write_b32 a7, v9
	v_pk_fma_f32 v[8:9], v[60:61], s[0:1], v[8:9] neg_lo:[0,0,1] neg_hi:[0,0,1]
	v_accvgpr_write_b32 a10, v10
	v_pk_mul_f32 v[82:83], v[68:69], s[14:15]
	s_mov_b32 s14, 0xbf4c4adb
	v_pk_fma_f32 v[38:39], v[66:67], s[6:7], v[10:11]
	v_accvgpr_write_b32 a11, v11
	v_pk_fma_f32 v[10:11], v[66:67], s[6:7], v[10:11] neg_lo:[0,0,1] neg_hi:[0,0,1]
	v_mov_b32_e32 v8, v36
	s_mov_b32 s15, 0xbf1a4643
	v_pk_add_f32 v[8:9], v[8:9], v[0:1]
	v_mov_b32_e32 v10, v38
	s_mov_b32 s46, s15
	s_mov_b32 s47, s14
	v_accvgpr_write_b32 a5, v37
	v_pk_add_f32 v[8:9], v[10:11], v[8:9]
	v_pk_fma_f32 v[36:37], v[60:61], s[10:11], v[82:83]
	v_pk_fma_f32 v[10:11], v[60:61], s[10:11], v[82:83] neg_lo:[0,0,1] neg_hi:[0,0,1]
	v_pk_mul_f32 v[92:93], v[48:49], s[46:47]
	v_accvgpr_write_b32 a9, v39
	v_accvgpr_write_b32 a17, v37
	v_mov_b32_e32 v10, v36
	v_pk_fma_f32 v[38:39], v[66:67], s[14:15], v[92:93]
	v_pk_fma_f32 v[36:37], v[66:67], s[14:15], v[92:93] neg_lo:[0,0,1] neg_hi:[0,0,1]
	v_pk_add_f32 v[10:11], v[10:11], v[0:1]
	v_mov_b32_e32 v36, v38
	v_pk_add_f32 v[112:113], v[30:31], v[32:33] neg_lo:[0,1] neg_hi:[0,1]
	v_pk_add_f32 v[10:11], v[36:37], v[10:11]
	s_mov_b32 s20, s15
	v_pk_add_f32 v[110:111], v[32:33], v[30:31]
	v_pk_mul_f32 v[36:37], v[112:113], s[14:15] op_sel_hi:[1,0]
	v_accvgpr_write_b32 a19, v39
	v_pk_fma_f32 v[38:39], v[110:111], s[20:21], v[36:37] op_sel:[0,0,1] op_sel_hi:[1,0,0]
	v_pk_fma_f32 v[78:79], v[110:111], s[20:21], v[36:37] op_sel:[0,0,1] op_sel_hi:[1,0,0] neg_lo:[0,0,1] neg_hi:[0,0,1]
	v_mov_b32_e32 v36, v38
	v_mov_b32_e32 v37, v79
	s_mov_b32 s16, 0x3e3c28d5
	v_pk_add_f32 v[8:9], v[36:37], v[8:9]
	s_mov_b32 s18, 0xbf7ba420
	v_pk_mul_f32 v[36:37], v[112:113], s[16:17] op_sel_hi:[1,0]
	v_accvgpr_write_b32 a13, v39
	v_pk_fma_f32 v[38:39], v[110:111], s[18:19], v[36:37] op_sel:[0,0,1] op_sel_hi:[1,0,0]
	v_pk_fma_f32 v[74:75], v[110:111], s[18:19], v[36:37] op_sel:[0,0,1] op_sel_hi:[1,0,0] neg_lo:[0,0,1] neg_hi:[0,0,1]
	v_mov_b32_e32 v36, v38
	v_mov_b32_e32 v37, v75
	s_mov_b32 s16, 0xbe3c28d5
	s_mov_b32 s17, s18
	v_pk_add_f32 v[124:125], v[20:21], v[26:27] neg_lo:[0,1] neg_hi:[0,1]
	v_pk_add_f32 v[10:11], v[36:37], v[10:11]
	s_mov_b32 s19, s16
	v_pk_add_f32 v[118:119], v[26:27], v[20:21]
	v_pk_mul_f32 v[36:37], v[124:125], s[16:17] op_sel:[1,0] op_sel_hi:[0,0]
	v_mov_b32_e32 v79, v39
	v_pk_fma_f32 v[38:39], v[118:119], s[18:19], v[36:37] op_sel_hi:[1,0,1]
	v_pk_fma_f32 v[96:97], v[118:119], s[18:19], v[36:37] op_sel_hi:[1,0,1] neg_lo:[0,0,1] neg_hi:[0,0,1]
	v_mov_b32_e32 v36, v38
	v_mov_b32_e32 v37, v97
	s_mov_b32 s36, 0x3f763a35
	v_pk_add_f32 v[8:9], v[36:37], v[8:9]
	s_mov_b32 s26, 0xbe8c1d8e
	v_pk_mul_f32 v[36:37], v[112:113], s[36:37] op_sel_hi:[1,0]
	s_mov_b32 s22, 0xbf763a35
	v_pk_fma_f32 v[42:43], v[110:111], s[26:27], v[36:37] op_sel:[0,0,1] op_sel_hi:[1,0,0]
	v_pk_fma_f32 v[80:81], v[110:111], s[26:27], v[36:37] op_sel:[0,0,1] op_sel_hi:[1,0,0] neg_lo:[0,0,1] neg_hi:[0,0,1]
	s_mov_b32 s27, s22
	v_pk_mul_f32 v[36:37], v[124:125], s[36:37] op_sel:[1,0] op_sel_hi:[0,0]
	v_accvgpr_write_b32 a21, v39
	v_pk_fma_f32 v[38:39], v[118:119], s[26:27], v[36:37] op_sel_hi:[1,0,1]
	v_pk_fma_f32 v[86:87], v[118:119], s[26:27], v[36:37] op_sel_hi:[1,0,1] neg_lo:[0,0,1] neg_hi:[0,0,1]
	s_mov_b32 s24, 0x3f06c442
	v_mov_b32_e32 v36, v38
	v_mov_b32_e32 v37, v87
	s_mov_b32 s25, 0xbf59a7d5
	v_pk_add_f32 v[136:137], v[22:23], v[24:25] neg_lo:[0,1] neg_hi:[0,1]
	v_pk_add_f32 v[10:11], v[36:37], v[10:11]
	s_mov_b32 s28, s25
	v_pk_add_f32 v[134:135], v[24:25], v[22:23]
	v_pk_mul_f32 v[36:37], v[136:137], s[24:25] op_sel:[1,0] op_sel_hi:[0,0]
	v_accvgpr_write_b32 a15, v39
	v_pk_fma_f32 v[38:39], v[134:135], s[28:29], v[36:37] op_sel_hi:[1,0,1]
	v_pk_fma_f32 v[106:107], v[134:135], s[28:29], v[36:37] op_sel_hi:[1,0,1] neg_lo:[0,0,1] neg_hi:[0,0,1]
	v_mov_b32_e32 v36, v38
	v_mov_b32_e32 v37, v107
	s_mov_b32 s40, 0x3f2c7751
	v_pk_add_f32 v[8:9], v[36:37], v[8:9]
	s_mov_b32 s34, s1
	v_pk_mul_f32 v[36:37], v[136:137], s[40:41] op_sel:[1,0] op_sel_hi:[0,0]
	v_mov_b32_e32 v87, v39
	v_pk_fma_f32 v[38:39], v[134:135], s[34:35], v[36:37] op_sel_hi:[1,0,1]
	v_pk_fma_f32 v[102:103], v[134:135], s[34:35], v[36:37] op_sel_hi:[1,0,1] neg_lo:[0,0,1] neg_hi:[0,0,1]
	v_mov_b32_e32 v36, v38
	v_mov_b32_e32 v37, v103
	s_mov_b32 s37, s26
	v_pk_add_f32 v[142:143], v[12:13], v[18:19] neg_lo:[0,1] neg_hi:[0,1]
	v_pk_add_f32 v[10:11], v[36:37], v[10:11]
	v_pk_mul_f32 v[138:139], v[68:69], s[26:27]
	s_mov_b32 s27, s36
	v_pk_add_f32 v[140:141], v[18:19], v[12:13]
	v_pk_mul_f32 v[36:37], v[142:143], s[36:37] op_sel:[1,0] op_sel_hi:[0,0]
	v_accvgpr_write_b32 a23, v39
	v_pk_fma_f32 v[38:39], v[140:141], s[26:27], v[36:37] op_sel_hi:[1,0,1]
	v_pk_fma_f32 v[122:123], v[140:141], s[26:27], v[36:37] op_sel_hi:[1,0,1] neg_lo:[0,0,1] neg_hi:[0,0,1]
	s_mov_b32 s30, 0xbeb8f4ab
	v_mov_b32_e32 v36, v38
	v_mov_b32_e32 v37, v123
	s_mov_b32 s31, 0x3f6eb680
	v_pk_add_f32 v[8:9], v[36:37], v[8:9]
	s_mov_b32 s54, s31
	v_pk_mul_f32 v[36:37], v[142:143], s[30:31] op_sel:[1,0] op_sel_hi:[0,0]
	v_mov_b32_e32 v103, v39
	v_pk_fma_f32 v[38:39], v[140:141], s[54:55], v[36:37] op_sel_hi:[1,0,1]
	v_pk_fma_f32 v[116:117], v[140:141], s[54:55], v[36:37] op_sel_hi:[1,0,1] neg_lo:[0,0,1] neg_hi:[0,0,1]
	v_mov_b32_e32 v36, v38
	v_mov_b32_e32 v37, v117
	s_mov_b32 s50, 0x3f65296c
	v_pk_add_f32 v[50:51], v[14:15], v[16:17] neg_lo:[0,1] neg_hi:[0,1]
	v_pk_add_f32 v[10:11], v[36:37], v[10:11]
	s_mov_b32 s38, s11
	v_pk_add_f32 v[160:161], v[16:17], v[14:15]
	v_pk_mul_f32 v[36:37], v[50:51], s[50:51] op_sel:[1,0] op_sel_hi:[0,0]
	v_pk_fma_f32 v[130:131], v[160:161], s[38:39], v[36:37] op_sel_hi:[1,0,1]
	v_pk_fma_f32 v[132:133], v[160:161], s[38:39], v[36:37] op_sel_hi:[1,0,1] neg_lo:[0,0,1] neg_hi:[0,0,1]
	v_mov_b32_e32 v36, v130
	v_mov_b32_e32 v37, v133
	v_pk_add_f32 v[8:9], v[36:37], v[8:9]
	s_mov_b32 s42, s7
	v_pk_mul_f32 v[36:37], v[50:51], s[6:7] op_sel:[1,0] op_sel_hi:[0,0]
	v_pk_fma_f32 v[126:127], v[160:161], s[42:43], v[36:37] op_sel_hi:[1,0,1]
	v_pk_fma_f32 v[128:129], v[160:161], s[42:43], v[36:37] op_sel_hi:[1,0,1] neg_lo:[0,0,1] neg_hi:[0,0,1]
	s_mov_b32 s48, 0x3eb8f4ab
	v_accvgpr_write_b32 a25, v39
	v_mov_b32_e32 v36, v126
	v_mov_b32_e32 v37, v129
	v_pk_mul_f32 v[38:39], v[124:125], s[48:49] op_sel:[1,0] op_sel_hi:[0,0]
	s_mov_b32 s49, s31
	v_pk_add_f32 v[192:193], v[4:5], v[6:7] neg_lo:[0,1] neg_hi:[0,1]
	v_pk_add_f32 v[36:37], v[36:37], v[10:11]
	v_pk_add_f32 v[190:191], v[6:7], v[4:5]
	v_pk_mul_f32 v[10:11], v[192:193], s[48:49] op_sel:[1,0] op_sel_hi:[0,0]
	v_pk_fma_f32 v[152:153], v[190:191], s[54:55], v[10:11] op_sel_hi:[1,0,1]
	v_pk_fma_f32 v[154:155], v[190:191], s[54:55], v[10:11] op_sel_hi:[1,0,1] neg_lo:[0,0,1] neg_hi:[0,0,1]
	s_mov_b32 s52, 0xbf06c442
	v_mov_b32_e32 v10, v152
	v_mov_b32_e32 v11, v155
	v_pk_add_f32 v[10:11], v[10:11], v[8:9]
	v_pk_mul_f32 v[8:9], v[192:193], s[52:53] op_sel:[1,0] op_sel_hi:[0,0]
	v_pk_fma_f32 v[144:145], v[190:191], s[28:29], v[8:9] op_sel_hi:[1,0,1]
	v_pk_fma_f32 v[146:147], v[190:191], s[28:29], v[8:9] op_sel_hi:[1,0,1] neg_lo:[0,0,1] neg_hi:[0,0,1]
	v_mov_b32_e32 v8, v144
	v_mov_b32_e32 v9, v147
	v_pk_mul_f32 v[196:197], v[68:69], s[44:45]
	v_pk_add_f32 v[8:9], v[8:9], v[36:37]
	v_pk_fma_f32 v[194:195], v[60:61], s[6:7], v[196:197]
	v_pk_fma_f32 v[36:37], v[60:61], s[6:7], v[196:197] neg_lo:[0,0,1] neg_hi:[0,0,1]
	v_pk_mul_f32 v[200:201], v[48:49], s[18:19]
	v_mov_b32_e32 v36, v194
	v_pk_fma_f32 v[198:199], v[66:67], s[16:17], v[200:201]
	v_pk_fma_f32 v[40:41], v[66:67], s[16:17], v[200:201] neg_lo:[0,0,1] neg_hi:[0,0,1]
	v_pk_add_f32 v[36:37], v[36:37], v[0:1]
	v_mov_b32_e32 v40, v198
	v_pk_add_f32 v[36:37], v[40:41], v[36:37]
	v_mov_b32_e32 v40, v42
	v_mov_b32_e32 v41, v81
	s_mov_b32 s23, s26
	s_mov_b32 s44, s25
	;; [unrolled: 1-line block ×3, first 2 shown]
	v_pk_add_f32 v[36:37], v[40:41], v[36:37]
	v_pk_fma_f32 v[204:205], v[60:61], s[22:23], v[138:139]
	v_pk_fma_f32 v[40:41], v[60:61], s[22:23], v[138:139] neg_lo:[0,0,1] neg_hi:[0,0,1]
	v_pk_mul_f32 v[208:209], v[48:49], s[44:45]
	v_mov_b32_e32 v75, v43
	v_mov_b32_e32 v40, v204
	v_pk_fma_f32 v[206:207], v[66:67], s[24:25], v[208:209]
	v_pk_fma_f32 v[42:43], v[66:67], s[24:25], v[208:209] neg_lo:[0,0,1] neg_hi:[0,0,1]
	v_pk_add_f32 v[40:41], v[40:41], v[0:1]
	v_mov_b32_e32 v42, v206
	v_pk_fma_f32 v[202:203], v[118:119], s[54:55], v[38:39] op_sel_hi:[1,0,1]
	v_pk_fma_f32 v[158:159], v[118:119], s[54:55], v[38:39] op_sel_hi:[1,0,1] neg_lo:[0,0,1] neg_hi:[0,0,1]
	v_pk_add_f32 v[40:41], v[42:43], v[40:41]
	v_pk_mul_f32 v[42:43], v[112:113], s[40:41] op_sel_hi:[1,0]
	v_mov_b32_e32 v38, v202
	v_mov_b32_e32 v39, v159
	v_pk_fma_f32 v[52:53], v[110:111], s[34:35], v[42:43] op_sel:[0,0,1] op_sel_hi:[1,0,0]
	v_pk_fma_f32 v[148:149], v[110:111], s[34:35], v[42:43] op_sel:[0,0,1] op_sel_hi:[1,0,0] neg_lo:[0,0,1] neg_hi:[0,0,1]
	v_pk_add_f32 v[36:37], v[38:39], v[36:37]
	v_pk_mul_f32 v[38:39], v[124:125], s[10:11] op_sel:[1,0] op_sel_hi:[0,0]
	v_mov_b32_e32 v42, v52
	v_mov_b32_e32 v43, v149
	v_pk_fma_f32 v[212:213], v[118:119], s[38:39], v[38:39] op_sel_hi:[1,0,1]
	v_pk_fma_f32 v[150:151], v[118:119], s[38:39], v[38:39] op_sel_hi:[1,0,1] neg_lo:[0,0,1] neg_hi:[0,0,1]
	v_pk_add_f32 v[40:41], v[42:43], v[40:41]
	v_mov_b32_e32 v38, v212
	v_mov_b32_e32 v39, v151
	v_pk_add_f32 v[38:39], v[38:39], v[40:41]
	v_pk_mul_f32 v[40:41], v[136:137], s[10:11] op_sel:[1,0] op_sel_hi:[0,0]
	v_pk_fma_f32 v[162:163], v[134:135], s[38:39], v[40:41] op_sel_hi:[1,0,1]
	v_pk_fma_f32 v[168:169], v[134:135], s[38:39], v[40:41] op_sel_hi:[1,0,1] neg_lo:[0,0,1] neg_hi:[0,0,1]
	v_mov_b32_e32 v40, v162
	v_mov_b32_e32 v41, v169
	v_pk_add_f32 v[36:37], v[40:41], v[36:37]
	v_pk_mul_f32 v[40:41], v[136:137], s[16:17] op_sel:[1,0] op_sel_hi:[0,0]
	v_pk_fma_f32 v[214:215], v[134:135], s[18:19], v[40:41] op_sel_hi:[1,0,1]
	v_pk_fma_f32 v[156:157], v[134:135], s[18:19], v[40:41] op_sel_hi:[1,0,1] neg_lo:[0,0,1] neg_hi:[0,0,1]
	;; [unrolled: 6-line block ×3, first 2 shown]
	v_mov_b32_e32 v40, v170
	v_mov_b32_e32 v41, v173
	s_mov_b32 s44, 0x3f7ee86f
	v_pk_add_f32 v[36:37], v[40:41], v[36:37]
	v_pk_mul_f32 v[40:41], v[142:143], s[44:45] op_sel:[1,0] op_sel_hi:[0,0]
	v_pk_fma_f32 v[164:165], v[140:141], s[42:43], v[40:41] op_sel_hi:[1,0,1]
	v_pk_fma_f32 v[166:167], v[140:141], s[42:43], v[40:41] op_sel_hi:[1,0,1] neg_lo:[0,0,1] neg_hi:[0,0,1]
	v_mov_b32_e32 v40, v164
	v_mov_b32_e32 v41, v167
	s_mov_b32 s56, 0x3f4c4adb
	v_pk_add_f32 v[38:39], v[40:41], v[38:39]
	v_pk_mul_f32 v[40:41], v[50:51], s[56:57] op_sel:[1,0] op_sel_hi:[0,0]
	v_pk_fma_f32 v[182:183], v[160:161], s[20:21], v[40:41] op_sel_hi:[1,0,1]
	v_pk_fma_f32 v[184:185], v[160:161], s[20:21], v[40:41] op_sel_hi:[1,0,1] neg_lo:[0,0,1] neg_hi:[0,0,1]
	v_mov_b32_e32 v40, v182
	v_mov_b32_e32 v41, v185
	v_pk_add_f32 v[36:37], v[40:41], v[36:37]
	v_pk_mul_f32 v[40:41], v[50:51], s[30:31] op_sel:[1,0] op_sel_hi:[0,0]
	v_pk_fma_f32 v[174:175], v[160:161], s[54:55], v[40:41] op_sel_hi:[1,0,1]
	v_pk_fma_f32 v[176:177], v[160:161], s[54:55], v[40:41] op_sel_hi:[1,0,1] neg_lo:[0,0,1] neg_hi:[0,0,1]
	v_mov_b32_e32 v40, v174
	v_mov_b32_e32 v41, v177
	;; [unrolled: 6-line block ×4, first 2 shown]
	v_pk_mul_f32 v[44:45], v[68:69], s[46:47]
	v_pk_add_f32 v[36:37], v[36:37], v[40:41]
	v_pk_fma_f32 v[40:41], v[60:61], s[14:15], v[44:45] neg_lo:[1,0,0] neg_hi:[1,0,0]
	v_pk_fma_f32 v[46:47], v[60:61], s[14:15], v[44:45]
	v_pk_mul_f32 v[218:219], v[48:49], s[26:27]
	v_mov_b32_e32 v41, v47
	v_pk_fma_f32 v[42:43], v[72:73], s[36:37], v[218:219] op_sel:[1,0,0] neg_lo:[1,0,0] neg_hi:[1,0,0]
	v_pk_fma_f32 v[220:221], v[66:67], s[36:37], v[218:219]
	v_pk_add_f32 v[40:41], v[40:41], v[0:1]
	v_mov_b32_e32 v43, v221
	v_pk_add_f32 v[40:41], v[42:43], v[40:41]
	v_pk_mul_f32 v[42:43], v[112:113], s[30:31] op_sel_hi:[1,0]
	s_mov_b32 s46, s25
	v_pk_fma_f32 v[222:223], v[110:111], s[54:55], v[42:43] op_sel:[0,0,1] op_sel_hi:[1,0,0] neg_lo:[0,0,1] neg_hi:[0,0,1]
	v_pk_fma_f32 v[230:231], v[110:111], s[54:55], v[42:43] op_sel:[0,0,1] op_sel_hi:[1,0,0]
	v_mov_b32_e32 v42, v222
	v_mov_b32_e32 v43, v231
	v_pk_add_f32 v[40:41], v[42:43], v[40:41]
	v_pk_mul_f32 v[42:43], v[124:125], s[52:53] op_sel:[1,0] op_sel_hi:[0,0]
	v_pk_fma_f32 v[232:233], v[118:119], s[28:29], v[42:43] op_sel_hi:[1,0,1] neg_lo:[0,0,1] neg_hi:[0,0,1]
	v_pk_fma_f32 v[234:235], v[118:119], s[28:29], v[42:43] op_sel_hi:[1,0,1]
	v_mov_b32_e32 v42, v232
	v_mov_b32_e32 v43, v235
	v_pk_add_f32 v[40:41], v[42:43], v[40:41]
	v_pk_mul_f32 v[42:43], v[136:137], s[44:45] op_sel:[1,0] op_sel_hi:[0,0]
	v_pk_fma_f32 v[236:237], v[134:135], s[42:43], v[42:43] op_sel_hi:[1,0,1] neg_lo:[0,0,1] neg_hi:[0,0,1]
	v_pk_fma_f32 v[238:239], v[134:135], s[42:43], v[42:43] op_sel_hi:[1,0,1]
	;; [unrolled: 6-line block ×3, first 2 shown]
	v_mov_b32_e32 v42, v240
	v_mov_b32_e32 v43, v243
	v_pk_add_f32 v[40:41], v[42:43], v[40:41]
	v_pk_mul_f32 v[42:43], v[50:51], s[16:17] op_sel:[1,0] op_sel_hi:[0,0]
	v_pk_fma_f32 v[244:245], v[160:161], s[18:19], v[42:43] op_sel_hi:[1,0,1]
	v_pk_fma_f32 v[42:43], v[160:161], s[18:19], v[42:43] op_sel_hi:[1,0,1] neg_lo:[0,0,1] neg_hi:[0,0,1]
	s_mov_b32 s47, s52
	v_mov_b32_e32 v247, v43
	v_mov_b32_e32 v43, v245
	v_pk_mul_f32 v[216:217], v[50:51], s[52:53] op_sel:[1,0] op_sel_hi:[0,0]
	v_pk_mul_f32 v[248:249], v[112:113], s[52:53] op_sel_hi:[1,0]
	s_mov_b32 s53, s25
	v_pk_mul_f32 v[250:251], v[68:69], s[46:47]
	s_mov_b32 s46, s11
	s_mov_b32 s47, s50
	v_pk_add_f32 v[40:41], v[42:43], v[40:41]
	v_pk_fma_f32 v[42:43], v[60:61], s[52:53], v[250:251] neg_lo:[1,0,0] neg_hi:[1,0,0]
	v_pk_fma_f32 v[252:253], v[60:61], s[52:53], v[250:251]
	v_pk_mul_f32 v[254:255], v[142:143], s[50:51] op_sel:[1,0] op_sel_hi:[0,0]
	v_pk_mul_f32 v[226:227], v[192:193], s[50:51] op_sel:[1,0] op_sel_hi:[0,0]
	s_mov_b32 s51, s11
	v_pk_mul_f32 v[228:229], v[48:49], s[46:47]
	v_mov_b32_e32 v43, v253
	v_pk_fma_f32 v[56:57], v[72:73], s[50:51], v[228:229] op_sel:[1,0,0] neg_lo:[1,0,0] neg_hi:[1,0,0]
	v_pk_fma_f32 v[62:63], v[66:67], s[50:51], v[228:229]
	v_pk_add_f32 v[42:43], v[42:43], v[0:1]
	v_mov_b32_e32 v57, v63
	v_pk_add_f32 v[42:43], v[56:57], v[42:43]
	v_pk_mul_f32 v[56:57], v[112:113], s[6:7] op_sel_hi:[1,0]
	v_pk_fma_f32 v[44:45], v[60:61], s[14:15], v[44:45] neg_lo:[0,0,1] neg_hi:[0,0,1]
	v_pk_fma_f32 v[84:85], v[110:111], s[42:43], v[56:57] op_sel:[0,0,1] op_sel_hi:[1,0,0] neg_lo:[0,0,1] neg_hi:[0,0,1]
	v_pk_fma_f32 v[56:57], v[110:111], s[42:43], v[56:57] op_sel:[0,0,1] op_sel_hi:[1,0,0]
	v_mov_b32_e32 v76, v84
	v_mov_b32_e32 v77, v57
	v_pk_add_f32 v[42:43], v[76:77], v[42:43]
	v_pk_mul_f32 v[76:77], v[124:125], s[56:57] op_sel:[1,0] op_sel_hi:[0,0]
	v_pk_fma_f32 v[90:91], v[118:119], s[20:21], v[76:77] op_sel_hi:[1,0,1] neg_lo:[0,0,1] neg_hi:[0,0,1]
	v_pk_fma_f32 v[76:77], v[118:119], s[20:21], v[76:77] op_sel_hi:[1,0,1]
	v_mov_b32_e32 v88, v90
	v_mov_b32_e32 v89, v77
	v_pk_add_f32 v[42:43], v[88:89], v[42:43]
	v_pk_mul_f32 v[88:89], v[136:137], s[30:31] op_sel:[1,0] op_sel_hi:[0,0]
	v_pk_fma_f32 v[98:99], v[134:135], s[54:55], v[88:89] op_sel_hi:[1,0,1] neg_lo:[0,0,1] neg_hi:[0,0,1]
	v_pk_fma_f32 v[88:89], v[134:135], s[54:55], v[88:89] op_sel_hi:[1,0,1]
	v_mov_b32_e32 v94, v98
	v_mov_b32_e32 v95, v89
	v_pk_add_f32 v[42:43], v[94:95], v[42:43]
	v_pk_mul_f32 v[94:95], v[142:143], s[16:17] op_sel:[1,0] op_sel_hi:[0,0]
	v_mov_b32_e32 v47, v45
	v_pk_fma_f32 v[44:45], v[66:67], s[36:37], v[218:219] neg_lo:[0,0,1] neg_hi:[0,0,1]
	v_pk_fma_f32 v[104:105], v[140:141], s[18:19], v[94:95] op_sel_hi:[1,0,1] neg_lo:[0,0,1] neg_hi:[0,0,1]
	v_pk_fma_f32 v[94:95], v[140:141], s[18:19], v[94:95] op_sel_hi:[1,0,1]
	v_mov_b32_e32 v221, v45
	v_pk_add_f32 v[44:45], v[46:47], v[0:1]
	v_pk_fma_f32 v[46:47], v[60:61], s[52:53], v[250:251] neg_lo:[0,0,1] neg_hi:[0,0,1]
	v_mov_b32_e32 v100, v104
	v_mov_b32_e32 v101, v95
	v_mov_b32_e32 v253, v47
	v_pk_fma_f32 v[46:47], v[66:67], s[50:51], v[228:229] neg_lo:[0,0,1] neg_hi:[0,0,1]
	v_pk_add_f32 v[42:43], v[100:101], v[42:43]
	v_pk_mul_f32 v[100:101], v[50:51], s[40:41] op_sel:[1,0] op_sel_hi:[0,0]
	v_mov_b32_e32 v63, v47
	v_pk_add_f32 v[46:47], v[252:253], v[0:1]
	v_pk_fma_f32 v[114:115], v[160:161], s[34:35], v[100:101] op_sel_hi:[1,0,1] neg_lo:[0,0,1] neg_hi:[0,0,1]
	v_pk_fma_f32 v[100:101], v[160:161], s[34:35], v[100:101] op_sel_hi:[1,0,1]
	v_mov_b32_e32 v231, v223
	v_pk_add_f32 v[44:45], v[220:221], v[44:45]
	v_mov_b32_e32 v57, v85
	v_pk_add_f32 v[46:47], v[62:63], v[46:47]
	v_mov_b32_e32 v108, v114
	v_mov_b32_e32 v109, v101
	v_pk_fma_f32 v[120:121], v[190:191], s[38:39], v[226:227] op_sel_hi:[1,0,1] neg_lo:[0,0,1] neg_hi:[0,0,1]
	v_pk_fma_f32 v[226:227], v[190:191], s[38:39], v[226:227] op_sel_hi:[1,0,1]
	v_mov_b32_e32 v235, v233
	v_pk_add_f32 v[44:45], v[230:231], v[44:45]
	v_mov_b32_e32 v77, v91
	v_pk_add_f32 v[46:47], v[56:57], v[46:47]
	v_pk_add_f32 v[42:43], v[108:109], v[42:43]
	v_mov_b32_e32 v108, v120
	v_mov_b32_e32 v109, v227
	v_pk_add_f32 v[44:45], v[234:235], v[44:45]
	v_mov_b32_e32 v239, v237
	v_mov_b32_e32 v89, v99
	v_pk_add_f32 v[46:47], v[76:77], v[46:47]
	v_pk_add_f32 v[40:41], v[108:109], v[40:41]
	v_pk_mul_f32 v[108:109], v[192:193], s[22:23] op_sel:[1,0] op_sel_hi:[0,0]
	v_pk_add_f32 v[44:45], v[238:239], v[44:45]
	v_mov_b32_e32 v243, v241
	v_pk_add_f32 v[46:47], v[88:89], v[46:47]
	v_mov_b32_e32 v95, v105
	v_pk_fma_f32 v[64:65], v[190:191], s[26:27], v[108:109] op_sel_hi:[1,0,1] neg_lo:[0,0,1] neg_hi:[0,0,1]
	v_pk_fma_f32 v[108:109], v[190:191], s[26:27], v[108:109] op_sel_hi:[1,0,1]
	v_pk_add_f32 v[44:45], v[242:243], v[44:45]
	v_mov_b32_e32 v246, v244
	v_pk_add_f32 v[46:47], v[94:95], v[46:47]
	v_mov_b32_e32 v101, v115
	v_mov_b32_e32 v59, v109
	v_pk_add_f32 v[44:45], v[246:247], v[44:45]
	v_mov_b32_e32 v227, v121
	v_pk_add_f32 v[56:57], v[100:101], v[46:47]
	v_mov_b32_e32 v109, v65
	v_mov_b32_e32 v58, v64
	v_pk_add_f32 v[46:47], v[226:227], v[44:45]
	v_pk_add_f32 v[44:45], v[108:109], v[56:57]
	v_pk_mul_f32 v[56:57], v[68:69], s[18:19]
	s_mov_b32 s36, s31
	s_mov_b32 s37, s48
	v_pk_add_f32 v[42:43], v[58:59], v[42:43]
	v_pk_fma_f32 v[58:59], v[60:61], s[16:17], v[56:57] neg_lo:[1,0,0] neg_hi:[1,0,0]
	v_pk_fma_f32 v[62:63], v[60:61], s[16:17], v[56:57]
	v_pk_mul_f32 v[48:49], v[48:49], s[36:37]
	v_mov_b32_e32 v59, v63
	v_pk_fma_f32 v[64:65], v[72:73], s[48:49], v[48:49] op_sel:[1,0,0] neg_lo:[1,0,0] neg_hi:[1,0,0]
	v_pk_fma_f32 v[76:77], v[66:67], s[48:49], v[48:49]
	v_pk_add_f32 v[58:59], v[58:59], v[0:1]
	v_mov_b32_e32 v65, v77
	v_pk_add_f32 v[58:59], v[64:65], v[58:59]
	v_pk_fma_f32 v[64:65], v[110:111], s[28:29], v[248:249] op_sel:[0,0,1] op_sel_hi:[1,0,0] neg_lo:[0,0,1] neg_hi:[0,0,1]
	v_pk_fma_f32 v[84:85], v[110:111], s[28:29], v[248:249] op_sel:[0,0,1] op_sel_hi:[1,0,0]
	v_mov_b32_e32 v88, v64
	v_mov_b32_e32 v89, v85
	v_pk_add_f32 v[58:59], v[88:89], v[58:59]
	v_pk_mul_f32 v[88:89], v[124:125], s[40:41] op_sel:[1,0] op_sel_hi:[0,0]
	v_pk_fma_f32 v[90:91], v[118:119], s[34:35], v[88:89] op_sel_hi:[1,0,1] neg_lo:[0,0,1] neg_hi:[0,0,1]
	v_pk_fma_f32 v[88:89], v[118:119], s[34:35], v[88:89] op_sel_hi:[1,0,1]
	v_pk_fma_f32 v[56:57], v[60:61], s[16:17], v[56:57] neg_lo:[0,0,1] neg_hi:[0,0,1]
	v_mov_b32_e32 v94, v90
	v_mov_b32_e32 v95, v89
	;; [unrolled: 1-line block ×3, first 2 shown]
	v_pk_fma_f32 v[48:49], v[66:67], s[48:49], v[48:49] neg_lo:[0,0,1] neg_hi:[0,0,1]
	v_pk_add_f32 v[58:59], v[94:95], v[58:59]
	v_pk_mul_f32 v[94:95], v[136:137], s[14:15] op_sel:[1,0] op_sel_hi:[0,0]
	v_mov_b32_e32 v77, v49
	v_pk_add_f32 v[48:49], v[62:63], v[0:1]
	v_pk_fma_f32 v[98:99], v[134:135], s[20:21], v[94:95] op_sel_hi:[1,0,1] neg_lo:[0,0,1] neg_hi:[0,0,1]
	v_pk_fma_f32 v[94:95], v[134:135], s[20:21], v[94:95] op_sel_hi:[1,0,1]
	v_mov_b32_e32 v85, v65
	v_pk_add_f32 v[48:49], v[76:77], v[48:49]
	v_mov_b32_e32 v100, v98
	v_mov_b32_e32 v101, v95
	;; [unrolled: 1-line block ×3, first 2 shown]
	v_pk_add_f32 v[48:49], v[84:85], v[48:49]
	v_pk_add_f32 v[58:59], v[100:101], v[58:59]
	v_pk_fma_f32 v[100:101], v[140:141], s[38:39], v[254:255] op_sel_hi:[1,0,1] neg_lo:[0,0,1] neg_hi:[0,0,1]
	v_pk_fma_f32 v[104:105], v[140:141], s[38:39], v[254:255] op_sel_hi:[1,0,1]
	v_mov_b32_e32 v95, v99
	v_pk_add_f32 v[48:49], v[88:89], v[48:49]
	v_pk_mul_f32 v[50:51], v[50:51], s[22:23] op_sel:[1,0] op_sel_hi:[0,0]
	v_mov_b32_e32 v109, v105
	v_mov_b32_e32 v105, v101
	v_pk_add_f32 v[48:49], v[94:95], v[48:49]
	v_pk_fma_f32 v[56:57], v[160:161], s[26:27], v[50:51] op_sel_hi:[1,0,1] neg_lo:[0,0,1] neg_hi:[0,0,1]
	v_pk_fma_f32 v[50:51], v[160:161], s[26:27], v[50:51] op_sel_hi:[1,0,1]
	v_mov_b32_e32 v108, v100
	v_pk_add_f32 v[48:49], v[104:105], v[48:49]
	v_mov_b32_e32 v63, v51
	v_mov_b32_e32 v51, v57
	v_pk_add_f32 v[58:59], v[108:109], v[58:59]
	v_mov_b32_e32 v62, v56
	v_pk_add_f32 v[50:51], v[50:51], v[48:49]
	v_pk_mul_f32 v[48:49], v[190:191], s[42:43] op_sel_hi:[1,0]
	v_pk_add_f32 v[58:59], v[62:63], v[58:59]
	v_pk_fma_f32 v[56:57], v[192:193], s[44:45], v[48:49] op_sel:[1,0,0] op_sel_hi:[0,0,1] neg_lo:[1,0,0] neg_hi:[1,0,0]
	v_pk_fma_f32 v[62:63], v[192:193], s[44:45], v[48:49] op_sel:[1,0,0] op_sel_hi:[0,0,1]
	v_mov_b32_e32 v48, v56
	v_mov_b32_e32 v49, v63
	;; [unrolled: 1-line block ×3, first 2 shown]
	v_pk_mul_f32 v[56:57], v[72:73], s[0:1] op_sel:[1,0] op_sel_hi:[0,0]
	v_pk_fma_f32 v[72:73], v[70:71], s[34:35], v[56:57] op_sel_hi:[1,0,1]
	v_pk_fma_f32 v[70:71], v[70:71], s[34:35], v[56:57] op_sel_hi:[1,0,1] neg_lo:[0,0,1] neg_hi:[0,0,1]
	s_mov_b32 s34, s31
	s_mov_b32 s35, s30
	v_pk_mul_f32 v[222:223], v[68:69], s[34:35]
	v_pk_add_f32 v[48:49], v[48:49], v[58:59]
	v_pk_fma_f32 v[220:221], v[60:61], s[30:31], v[222:223]
	v_pk_fma_f32 v[56:57], v[60:61], s[30:31], v[222:223] neg_lo:[0,0,1] neg_hi:[0,0,1]
	v_mov_b32_e32 v58, v72
	v_mov_b32_e32 v56, v220
	v_pk_add_f32 v[56:57], v[56:57], v[0:1]
	v_mov_b32_e32 v59, v71
	v_pk_add_f32 v[56:57], v[58:59], v[56:57]
	v_pk_mul_f32 v[58:59], v[112:113], s[10:11] op_sel_hi:[1,0]
	v_pk_fma_f32 v[218:219], v[160:161], s[28:29], v[216:217] op_sel_hi:[1,0,1]
	v_pk_fma_f32 v[112:113], v[110:111], s[38:39], v[58:59] op_sel:[0,0,1] op_sel_hi:[1,0,0]
	v_pk_fma_f32 v[110:111], v[110:111], s[38:39], v[58:59] op_sel:[0,0,1] op_sel_hi:[1,0,0] neg_lo:[0,0,1] neg_hi:[0,0,1]
	v_mov_b32_e32 v58, v112
	v_mov_b32_e32 v59, v111
	v_pk_add_f32 v[56:57], v[58:59], v[56:57]
	v_pk_mul_f32 v[58:59], v[124:125], s[6:7] op_sel:[1,0] op_sel_hi:[0,0]
	v_pk_fma_f32 v[124:125], v[118:119], s[42:43], v[58:59] op_sel_hi:[1,0,1]
	v_pk_fma_f32 v[118:119], v[118:119], s[42:43], v[58:59] op_sel_hi:[1,0,1] neg_lo:[0,0,1] neg_hi:[0,0,1]
	v_mov_b32_e32 v58, v124
	v_mov_b32_e32 v59, v119
	v_pk_add_f32 v[56:57], v[58:59], v[56:57]
	v_pk_mul_f32 v[58:59], v[136:137], s[22:23] op_sel:[1,0] op_sel_hi:[0,0]
	v_pk_fma_f32 v[136:137], v[134:135], s[26:27], v[58:59] op_sel_hi:[1,0,1]
	v_pk_fma_f32 v[134:135], v[134:135], s[26:27], v[58:59] op_sel_hi:[1,0,1] neg_lo:[0,0,1] neg_hi:[0,0,1]
	;; [unrolled: 6-line block ×3, first 2 shown]
	v_mov_b32_e32 v58, v142
	v_mov_b32_e32 v59, v141
	v_pk_fma_f32 v[160:161], v[160:161], s[28:29], v[216:217] op_sel_hi:[1,0,1] neg_lo:[0,0,1] neg_hi:[0,0,1]
	v_pk_add_f32 v[56:57], v[58:59], v[56:57]
	v_mov_b32_e32 v58, v218
	v_mov_b32_e32 v59, v161
	v_pk_add_f32 v[56:57], v[58:59], v[56:57]
	v_pk_mul_f32 v[58:59], v[192:193], s[16:17] op_sel:[1,0] op_sel_hi:[0,0]
	v_pk_fma_f32 v[192:193], v[190:191], s[18:19], v[58:59] op_sel_hi:[1,0,1]
	v_pk_fma_f32 v[190:191], v[190:191], s[18:19], v[58:59] op_sel_hi:[1,0,1] neg_lo:[0,0,1] neg_hi:[0,0,1]
	v_mov_b32_e32 v58, v192
	v_mov_b32_e32 v59, v191
	v_pk_add_f32 v[50:51], v[62:63], v[50:51]
	v_pk_add_f32 v[68:69], v[58:59], v[56:57]
	v_mul_lo_u16_e32 v56, 17, v225
	s_barrier
	s_and_saveexec_b64 s[18:19], vcc
	s_cbranch_execz .LBB0_7
; %bb.6:
	v_pk_add_f32 v[2:3], v[2:3], v[0:1]
	v_pk_mul_f32 v[58:59], v[60:61], s[30:31]
	v_pk_add_f32 v[2:3], v[28:29], v[2:3]
	v_pk_add_f32 v[58:59], v[222:223], v[58:59] neg_lo:[0,1] neg_hi:[0,1]
	v_pk_add_f32 v[2:3], v[30:31], v[2:3]
	v_mov_b32_e32 v59, v221
	v_pk_add_f32 v[2:3], v[20:21], v[2:3]
	v_mov_b32_e32 v71, v73
	;; [unrolled: 2-line block ×5, first 2 shown]
	v_pk_add_f32 v[2:3], v[4:5], v[2:3]
	v_pk_add_f32 v[4:5], v[58:59], v[0:1]
	;; [unrolled: 1-line block ×7, first 2 shown]
	v_accvgpr_read_b32 v53, a7
	v_pk_add_f32 v[2:3], v[24:25], v[2:3]
	v_pk_add_f32 v[4:5], v[118:119], v[4:5]
	v_mov_b32_e32 v135, v137
	v_pk_mul_f32 v[62:63], v[60:61], s[0:1]
	v_accvgpr_read_b32 v52, a6
	v_pk_add_f32 v[2:3], v[26:27], v[2:3]
	v_pk_add_f32 v[4:5], v[134:135], v[4:5]
	v_mov_b32_e32 v141, v143
	v_pk_mul_f32 v[76:77], v[60:61], s[10:11]
	v_pk_add_f32 v[62:63], v[52:53], v[62:63] neg_lo:[0,1] neg_hi:[0,1]
	v_accvgpr_read_b32 v53, a11
	v_pk_add_f32 v[2:3], v[32:33], v[2:3]
	v_pk_add_f32 v[4:5], v[140:141], v[4:5]
	v_mov_b32_e32 v161, v219
	v_pk_mul_f32 v[64:65], v[66:67], s[6:7]
	v_pk_mul_f32 v[84:85], v[66:67], s[14:15]
	v_pk_add_f32 v[76:77], v[82:83], v[76:77] neg_lo:[0,1] neg_hi:[0,1]
	v_accvgpr_read_b32 v52, a10
	v_pk_add_f32 v[2:3], v[34:35], v[2:3]
	v_pk_add_f32 v[4:5], v[160:161], v[4:5]
	v_mov_b32_e32 v191, v193
	v_accvgpr_read_b32 v77, a17
	v_pk_add_f32 v[82:83], v[92:93], v[84:85] neg_lo:[0,1] neg_hi:[0,1]
	v_accvgpr_read_b32 v63, a5
	v_pk_add_f32 v[64:65], v[52:53], v[64:65] neg_lo:[0,1] neg_hi:[0,1]
	v_add_lshl_u32 v20, v210, v56, 3
	v_pk_add_f32 v[2:3], v[54:55], v[2:3]
	v_pk_add_f32 v[4:5], v[190:191], v[4:5]
	v_accvgpr_read_b32 v83, a19
	v_accvgpr_read_b32 v65, a9
	ds_write2_b64 v20, v[2:3], v[4:5] offset1:1
	v_pk_add_f32 v[2:3], v[62:63], v[0:1]
	v_pk_add_f32 v[4:5], v[76:77], v[0:1]
	v_mov_b32_e32 v81, v75
	v_mov_b32_e32 v75, v79
	v_pk_add_f32 v[2:3], v[64:65], v[2:3]
	v_accvgpr_read_b32 v79, a13
	v_pk_add_f32 v[4:5], v[82:83], v[4:5]
	v_pk_add_f32 v[2:3], v[78:79], v[2:3]
	v_accvgpr_read_b32 v97, a21
	v_mov_b32_e32 v107, v87
	v_pk_add_f32 v[4:5], v[74:75], v[4:5]
	v_accvgpr_read_b32 v87, a15
	v_pk_add_f32 v[2:3], v[96:97], v[2:3]
	v_mov_b32_e32 v123, v103
	v_pk_add_f32 v[4:5], v[86:87], v[4:5]
	v_accvgpr_read_b32 v103, a23
	v_pk_add_f32 v[2:3], v[106:107], v[2:3]
	v_pk_add_f32 v[4:5], v[102:103], v[4:5]
	v_accvgpr_read_b32 v117, a25
	v_pk_mul_f32 v[88:89], v[60:61], s[6:7]
	v_pk_mul_f32 v[60:61], v[60:61], s[22:23]
	v_pk_add_f32 v[2:3], v[122:123], v[2:3]
	v_mov_b32_e32 v133, v131
	v_pk_add_f32 v[4:5], v[116:117], v[4:5]
	v_mov_b32_e32 v129, v127
	v_pk_mul_f32 v[90:91], v[66:67], s[16:17]
	v_pk_mul_f32 v[66:67], v[66:67], s[24:25]
	v_pk_add_f32 v[60:61], v[138:139], v[60:61] neg_lo:[0,1] neg_hi:[0,1]
	v_pk_add_f32 v[88:89], v[196:197], v[88:89] neg_lo:[0,1] neg_hi:[0,1]
	v_pk_add_f32 v[2:3], v[132:133], v[2:3]
	v_mov_b32_e32 v155, v153
	v_pk_add_f32 v[4:5], v[128:129], v[4:5]
	v_mov_b32_e32 v147, v145
	v_mov_b32_e32 v61, v205
	v_pk_add_f32 v[66:67], v[208:209], v[66:67] neg_lo:[0,1] neg_hi:[0,1]
	v_mov_b32_e32 v89, v195
	v_pk_add_f32 v[90:91], v[200:201], v[90:91] neg_lo:[0,1] neg_hi:[0,1]
	v_pk_add_f32 v[2:3], v[154:155], v[2:3]
	v_pk_add_f32 v[4:5], v[146:147], v[4:5]
	v_mov_b32_e32 v67, v207
	v_mov_b32_e32 v91, v199
	ds_write2_b64 v20, v[2:3], v[4:5] offset0:2 offset1:3
	v_pk_add_f32 v[2:3], v[88:89], v[0:1]
	v_pk_add_f32 v[0:1], v[60:61], v[0:1]
	;; [unrolled: 1-line block ×4, first 2 shown]
	v_mov_b32_e32 v151, v213
	v_mov_b32_e32 v159, v203
	v_pk_add_f32 v[2:3], v[80:81], v[2:3]
	v_pk_add_f32 v[0:1], v[148:149], v[0:1]
	v_mov_b32_e32 v157, v215
	v_pk_add_f32 v[2:3], v[158:159], v[2:3]
	v_mov_b32_e32 v169, v163
	v_pk_add_f32 v[0:1], v[150:151], v[0:1]
	v_pk_add_f32 v[2:3], v[168:169], v[2:3]
	v_mov_b32_e32 v173, v171
	v_pk_add_f32 v[0:1], v[156:157], v[0:1]
	v_mov_b32_e32 v167, v165
	;; [unrolled: 2-line block ×6, first 2 shown]
	v_pk_add_f32 v[2:3], v[188:189], v[2:3]
	v_pk_add_f32 v[0:1], v[180:181], v[0:1]
	ds_write2_b64 v20, v[2:3], v[0:1] offset0:4 offset1:5
	ds_write2_b64 v20, v[40:41], v[42:43] offset0:6 offset1:7
	;; [unrolled: 1-line block ×6, first 2 shown]
	ds_write_b64 v20, v[68:69] offset:128
.LBB0_7:
	s_or_b64 exec, exec, s[18:19]
	v_mad_u64_u32 v[12:13], s[4:5], v225, 40, s[4:5]
	s_load_dwordx4 s[0:3], s[2:3], 0x0
	s_waitcnt lgkmcnt(0)
	s_barrier
	global_load_dwordx4 v[4:7], v[12:13], off
	global_load_dwordx4 v[0:3], v[12:13], off offset:16
	global_load_dwordx2 v[24:25], v[12:13], off offset:32
	v_add_lshl_u32 v118, v210, v225, 3
	ds_read2_b64 v[12:15], v118 offset0:34 offset1:51
	ds_read2_b64 v[16:19], v118 offset0:68 offset1:85
	v_accvgpr_read_b32 v20, a3
	v_lshl_add_u32 v210, v225, 3, v20
	ds_read2_b64 v[20:23], v118 offset1:17
	s_waitcnt lgkmcnt(2)
	v_mov_b32_e32 v26, v15
	s_waitcnt lgkmcnt(1)
	v_mov_b32_e32 v28, v19
	s_mov_b32 s4, 0x3f5db3d7
	s_mov_b32 s5, 0xbf5db3d7
	s_mov_b32 s6, 0.5
	s_mov_b32 s7, s4
	s_waitcnt vmcnt(2)
	v_mov_b32_e32 v30, v5
	s_waitcnt vmcnt(1)
	v_pk_mul_f32 v[34:35], v[14:15], v[0:1]
	v_mov_b32_e32 v54, v1
	s_waitcnt vmcnt(0)
	v_pk_mul_f32 v[58:59], v[18:19], v[24:25]
	v_mov_b32_e32 v60, v25
	v_mov_b32_e32 v62, v7
	s_waitcnt lgkmcnt(0)
	v_pk_mul_f32 v[30:31], v[22:23], v[30:31] op_sel:[1,0] op_sel_hi:[0,1]
	v_pk_mul_f32 v[14:15], v[14:15], v[54:55]
	v_mov_b32_e32 v54, v34
	v_mov_b32_e32 v55, v58
	v_mov_b32_e32 v58, v35
	v_pk_mul_f32 v[18:19], v[18:19], v[60:61]
	v_pk_mul_f32 v[34:35], v[12:13], v[62:63] op_sel_hi:[1,0]
	v_pk_mul_f32 v[32:33], v[22:23], v[4:5] op_sel:[1,0] op_sel_hi:[0,1]
	v_mov_b32_e32 v64, v3
	v_pk_fma_f32 v[22:23], v[22:23], v[4:5], v[30:31] neg_lo:[0,0,1] neg_hi:[0,0,1]
	v_pk_fma_f32 v[14:15], v[26:27], v[0:1], v[14:15]
	v_pk_add_f32 v[26:27], v[54:55], v[58:59] neg_lo:[0,1] neg_hi:[0,1]
	v_pk_fma_f32 v[18:19], v[28:29], v[24:25], v[18:19]
	v_pk_fma_f32 v[28:29], v[12:13], v[6:7], v[34:35] op_sel:[0,0,1] op_sel_hi:[1,1,0] neg_lo:[0,0,1] neg_hi:[0,0,1]
	v_pk_fma_f32 v[12:13], v[12:13], v[6:7], v[34:35] op_sel:[0,0,1] op_sel_hi:[1,0,0]
	v_pk_mul_f32 v[60:61], v[16:17], v[64:65] op_sel_hi:[1,0]
	v_mov_b32_e32 v29, v13
	v_pk_add_f32 v[12:13], v[22:23], v[26:27]
	v_mov_b32_e32 v62, v33
	v_pk_fma_f32 v[30:31], v[16:17], v[2:3], v[60:61] op_sel:[0,0,1] op_sel_hi:[1,1,0] neg_lo:[0,0,1] neg_hi:[0,0,1]
	v_pk_fma_f32 v[16:17], v[16:17], v[2:3], v[60:61] op_sel:[0,0,1] op_sel_hi:[1,0,0]
	v_add_f32_e32 v13, v26, v27
	v_mov_b32_e32 v33, v14
	v_mov_b32_e32 v63, v18
	v_mov_b32_e32 v31, v17
	v_sub_f32_e32 v23, v14, v18
	v_fmac_f32_e32 v22, -0.5, v13
	v_pk_add_f32 v[32:33], v[32:33], v[62:63]
	v_sub_f32_e32 v35, v26, v27
	v_mov_b32_e32 v16, v27
	v_mov_b32_e32 v17, v18
	v_pk_add_f32 v[18:19], v[20:21], v[28:29]
	v_pk_add_f32 v[26:27], v[28:29], v[30:31] neg_lo:[0,1] neg_hi:[0,1]
	v_pk_add_f32 v[28:29], v[28:29], v[30:31]
	v_fmamk_f32 v34, v23, 0x3f5db3d7, v22
	v_fmac_f32_e32 v22, 0xbf5db3d7, v23
	v_pk_add_f32 v[14:15], v[32:33], v[14:15]
	v_fmac_f32_e32 v32, -0.5, v33
	v_pk_fma_f32 v[20:21], v[28:29], 0.5, v[20:21] op_sel_hi:[1,0,1] neg_lo:[1,0,0] neg_hi:[1,0,0]
	v_fmamk_f32 v28, v35, 0xbf5db3d7, v32
	v_fmac_f32_e32 v32, 0x3f5db3d7, v35
	v_mov_b32_e32 v13, v14
	v_mov_b32_e32 v33, v22
	v_pk_add_f32 v[16:17], v[12:13], v[16:17]
	v_pk_mul_f32 v[12:13], v[32:33], 0.5 op_sel_hi:[1,0]
	v_pk_add_f32 v[18:19], v[18:19], v[30:31]
	v_pk_fma_f32 v[30:31], v[26:27], s[4:5], v[20:21] op_sel:[1,0,0] op_sel_hi:[0,0,1] neg_lo:[1,0,0] neg_hi:[1,0,0]
	v_pk_fma_f32 v[20:21], v[26:27], s[4:5], v[20:21] op_sel:[1,0,0] op_sel_hi:[0,0,1]
	v_pk_mul_f32 v[14:15], v[34:35], s[6:7] op_sel_hi:[0,1]
	v_pk_fma_f32 v[26:27], v[32:33], s[4:5], v[12:13] op_sel:[0,0,1] op_sel_hi:[1,1,0] neg_lo:[0,0,1] neg_hi:[0,0,1]
	s_mov_b32 s5, s6
	v_mov_b32_e32 v22, v30
	v_mov_b32_e32 v23, v21
	;; [unrolled: 1-line block ×3, first 2 shown]
	v_pk_fma_f32 v[30:31], v[28:29], s[4:5], v[14:15]
	v_pk_fma_f32 v[14:15], v[28:29], s[4:5], v[14:15] op_sel_hi:[0,1,1] neg_lo:[0,0,1] neg_hi:[0,0,1]
	v_mov_b32_e32 v31, v15
	v_pk_add_f32 v[12:13], v[18:19], v[16:17]
	v_pk_add_f32 v[18:19], v[18:19], v[16:17] neg_lo:[0,1] neg_hi:[0,1]
	v_pk_add_f32 v[16:17], v[22:23], v[26:27]
	v_pk_add_f32 v[22:23], v[22:23], v[26:27] neg_lo:[0,1] neg_hi:[0,1]
	;; [unrolled: 2-line block ×3, first 2 shown]
	ds_write2_b64 v210, v[16:17], v[18:19] offset0:34 offset1:51
	ds_write2_b64 v210, v[12:13], v[14:15] offset1:17
	ds_write2_b64 v210, v[20:21], v[22:23] offset0:68 offset1:85
	s_waitcnt lgkmcnt(0)
	s_barrier
	s_and_saveexec_b64 s[4:5], vcc
	s_cbranch_execz .LBB0_9
; %bb.8:
	global_load_dwordx2 v[34:35], v211, s[8:9] offset:816
	s_add_u32 s6, s8, 0x330
	s_addc_u32 s7, s9, 0
	global_load_dwordx2 v[54:55], v211, s[6:7] offset:48
	global_load_dwordx2 v[66:67], v211, s[6:7] offset:96
	;; [unrolled: 1-line block ×15, first 2 shown]
	ds_read2_b64 v[26:29], v210 offset1:6
	ds_read2_b64 v[30:33], v210 offset0:12 offset1:18
	global_load_dwordx2 v[108:109], v211, s[6:7] offset:768
	ds_read2_b64 v[58:61], v210 offset0:24 offset1:30
	ds_read2_b64 v[62:65], v210 offset0:36 offset1:42
	;; [unrolled: 1-line block ×5, first 2 shown]
	s_waitcnt vmcnt(12) lgkmcnt(4)
	v_mul_f32_e32 v53, v59, v85
	s_waitcnt vmcnt(11)
	v_mul_f32_e32 v57, v61, v87
	s_waitcnt vmcnt(10) lgkmcnt(3)
	v_mul_f32_e32 v112, v63, v89
	s_waitcnt vmcnt(9)
	v_mul_f32_e32 v113, v65, v91
	s_waitcnt vmcnt(8) lgkmcnt(2)
	v_mul_f32_e32 v114, v71, v93
	s_waitcnt vmcnt(7)
	v_mul_f32_e32 v115, v73, v95
	s_waitcnt vmcnt(6) lgkmcnt(1)
	v_mul_f32_e32 v116, v75, v97
	s_waitcnt vmcnt(5)
	v_mul_f32_e32 v117, v77, v99
	v_mul_f32_e32 v52, v27, v35
	v_mul_f32_e32 v111, v26, v35
	v_fma_f32 v110, v26, v34, -v52
	v_fmac_f32_e32 v111, v27, v34
	v_mul_f32_e32 v26, v29, v55
	v_mul_f32_e32 v27, v28, v55
	;; [unrolled: 1-line block ×14, first 2 shown]
	v_fma_f32 v26, v28, v54, -v26
	v_fmac_f32_e32 v27, v29, v54
	v_fma_f32 v34, v30, v66, -v34
	v_fmac_f32_e32 v35, v31, v66
	;; [unrolled: 2-line block ×11, first 2 shown]
	ds_write2_b64 v210, v[110:111], v[26:27] offset1:6
	ds_write2_b64 v210, v[34:35], v[54:55] offset0:12 offset1:18
	ds_write2_b64 v210, v[66:67], v[82:83] offset0:24 offset1:30
	;; [unrolled: 1-line block ×5, first 2 shown]
	ds_read2_b64 v[26:29], v210 offset0:84 offset1:90
	s_waitcnt vmcnt(4) lgkmcnt(7)
	v_mul_f32_e32 v99, v79, v101
	v_mul_f32_e32 v97, v78, v101
	s_waitcnt vmcnt(3)
	v_mul_f32_e32 v101, v81, v103
	v_mul_f32_e32 v31, v80, v103
	v_fma_f32 v96, v78, v100, -v99
	v_fmac_f32_e32 v97, v79, v100
	v_fma_f32 v30, v80, v102, -v101
	v_fmac_f32_e32 v31, v81, v102
	ds_write2_b64 v210, v[96:97], v[30:31] offset0:72 offset1:78
	s_waitcnt vmcnt(2) lgkmcnt(1)
	v_mul_f32_e32 v30, v27, v105
	v_mul_f32_e32 v31, v26, v105
	v_fma_f32 v30, v26, v104, -v30
	v_fmac_f32_e32 v31, v27, v104
	ds_read_b64 v[26:27], v210 offset:768
	s_waitcnt vmcnt(1)
	v_mul_f32_e32 v32, v29, v107
	v_mul_f32_e32 v33, v28, v107
	v_fma_f32 v32, v28, v106, -v32
	v_fmac_f32_e32 v33, v29, v106
	s_waitcnt vmcnt(0) lgkmcnt(0)
	v_mul_f32_e32 v28, v27, v109
	v_mul_f32_e32 v29, v26, v109
	v_fma_f32 v28, v26, v108, -v28
	v_fmac_f32_e32 v29, v27, v108
	ds_write2_b64 v210, v[30:31], v[32:33] offset0:84 offset1:90
	ds_write_b64 v210, v[28:29] offset:768
.LBB0_9:
	s_or_b64 exec, exec, s[4:5]
	s_waitcnt lgkmcnt(0)
	s_barrier
	s_and_saveexec_b64 s[4:5], vcc
	s_cbranch_execz .LBB0_11
; %bb.10:
	ds_read2_b64 v[12:15], v210 offset1:6
	ds_read2_b64 v[16:19], v210 offset0:12 offset1:18
	ds_read2_b64 v[20:23], v210 offset0:24 offset1:30
	;; [unrolled: 1-line block ×7, first 2 shown]
	ds_read_b64 v[68:69], v210 offset:768
.LBB0_11:
	s_or_b64 exec, exec, s[4:5]
	v_mov_b32_e32 v28, v6
	v_mov_b32_e32 v29, v6
	;; [unrolled: 1-line block ×6, first 2 shown]
	s_waitcnt lgkmcnt(0)
	s_barrier
	s_and_saveexec_b64 s[4:5], vcc
	s_cbranch_execz .LBB0_13
; %bb.12:
	v_pk_add_f32 v[30:31], v[14:15], v[12:13]
	v_pk_add_f32 v[144:145], v[14:15], v[68:69] neg_lo:[0,1] neg_hi:[0,1]
	v_pk_add_f32 v[30:31], v[16:17], v[30:31]
	s_mov_b32 s26, 0xbeb8f4ab
	v_pk_add_f32 v[30:31], v[18:19], v[30:31]
	v_pk_add_f32 v[142:143], v[68:69], v[14:15]
	;; [unrolled: 1-line block ×5, first 2 shown]
	v_pk_add_f32 v[140:141], v[16:17], v[10:11] neg_lo:[0,1] neg_hi:[0,1]
	v_pk_add_f32 v[30:31], v[40:41], v[30:31]
	s_mov_b32 s16, 0x3f6eb680
	v_pk_add_f32 v[30:31], v[42:43], v[30:31]
	s_mov_b32 s40, 0xbf2c7751
	;; [unrolled: 2-line block ×3, first 2 shown]
	v_pk_add_f32 v[30:31], v[50:51], v[30:31]
	v_pk_mul_f32 v[16:17], v[140:141], s[40:41] op_sel_hi:[1,0]
	v_pk_add_f32 v[30:31], v[44:45], v[30:31]
	v_accvgpr_read_b32 v32, a3
	v_pk_add_f32 v[30:31], v[46:47], v[30:31]
	v_pk_add_f32 v[122:123], v[38:39], v[20:21]
	v_pk_add_f32 v[30:31], v[36:37], v[30:31]
	v_pk_add_f32 v[128:129], v[20:21], v[38:39] neg_lo:[0,1] neg_hi:[0,1]
	v_pk_add_f32 v[30:31], v[38:39], v[30:31]
	v_pk_fma_f32 v[20:21], v[138:139], s[14:15], v[16:17] op_sel:[0,0,1] op_sel_hi:[1,0,0]
	v_pk_add_f32 v[30:31], v[8:9], v[30:31]
	v_pk_fma_f32 v[244:245], v[138:139], s[14:15], v[16:17] op_sel:[0,0,1] op_sel_hi:[1,0,0] neg_lo:[0,0,1] neg_hi:[0,0,1]
	v_pk_add_f32 v[30:31], v[10:11], v[30:31]
	v_pk_mul_f32 v[10:11], v[144:145], s[26:27] op_sel_hi:[1,0]
	v_pk_add_f32 v[130:131], v[8:9], v[18:19]
	v_pk_fma_f32 v[14:15], v[142:143], s[16:17], v[10:11] op_sel:[0,0,1] op_sel_hi:[1,0,0]
	v_pk_fma_f32 v[248:249], v[142:143], s[16:17], v[10:11] op_sel:[0,0,1] op_sel_hi:[1,0,0] neg_lo:[0,0,1] neg_hi:[0,0,1]
	v_accvgpr_write_b32 a3, v15
	v_mov_b32_e32 v15, v249
	v_pk_add_f32 v[136:137], v[18:19], v[8:9] neg_lo:[0,1] neg_hi:[0,1]
	v_pk_add_f32 v[18:19], v[12:13], v[14:15]
	v_accvgpr_write_b32 a5, v21
	v_mov_b32_e32 v21, v245
	s_mov_b32 s48, 0xbf65296c
	v_pk_add_f32 v[114:115], v[36:37], v[22:23]
	v_pk_add_f32 v[120:121], v[22:23], v[36:37] neg_lo:[0,1] neg_hi:[0,1]
	v_pk_add_f32 v[22:23], v[20:21], v[18:19]
	s_mov_b32 s10, 0x3ee437d1
	v_pk_mul_f32 v[20:21], v[136:137], s[48:49] op_sel_hi:[1,0]
	v_pk_add_f32 v[54:55], v[68:69], v[30:31]
	v_pk_fma_f32 v[30:31], v[130:131], s[10:11], v[20:21] op_sel:[0,0,1] op_sel_hi:[1,0,0]
	v_pk_fma_f32 v[240:241], v[130:131], s[10:11], v[20:21] op_sel:[0,0,1] op_sel_hi:[1,0,0] neg_lo:[0,0,1] neg_hi:[0,0,1]
	v_accvgpr_write_b32 a7, v31
	v_mov_b32_e32 v31, v241
	s_mov_b32 s38, 0xbf7ee86f
	v_accvgpr_write_b32 a0, v225
	v_lshl_add_u32 v225, v56, 3, v32
	v_pk_add_f32 v[32:33], v[30:31], v[22:23]
	s_mov_b32 s6, 0x3dbcf732
	v_pk_mul_f32 v[30:31], v[128:129], s[38:39] op_sel_hi:[1,0]
	s_mov_b32 s20, 0xbf763a35
	v_pk_fma_f32 v[34:35], v[122:123], s[6:7], v[30:31] op_sel:[0,0,1] op_sel_hi:[1,0,0]
	v_pk_fma_f32 v[236:237], v[122:123], s[6:7], v[30:31] op_sel:[0,0,1] op_sel_hi:[1,0,0] neg_lo:[0,0,1] neg_hi:[0,0,1]
	v_accvgpr_write_b32 a9, v35
	v_mov_b32_e32 v35, v237
	v_pk_add_f32 v[36:37], v[34:35], v[32:33]
	s_mov_b32 s18, 0xbe8c1d8e
	v_pk_mul_f32 v[34:35], v[120:121], s[20:21] op_sel_hi:[1,0]
	v_pk_add_f32 v[108:109], v[40:41], v[46:47] neg_lo:[0,1] neg_hi:[0,1]
	v_pk_fma_f32 v[38:39], v[114:115], s[18:19], v[34:35] op_sel:[0,0,1] op_sel_hi:[1,0,0]
	v_pk_fma_f32 v[232:233], v[114:115], s[18:19], v[34:35] op_sel:[0,0,1] op_sel_hi:[1,0,0] neg_lo:[0,0,1] neg_hi:[0,0,1]
	v_accvgpr_write_b32 a11, v39
	v_mov_b32_e32 v39, v233
	s_mov_b32 s24, 0xbf4c4adb
	v_pk_add_f32 v[106:107], v[46:47], v[40:41]
	v_pk_add_f32 v[40:41], v[38:39], v[36:37]
	s_mov_b32 s22, 0xbf1a4643
	v_pk_mul_f32 v[38:39], v[108:109], s[24:25] op_sel_hi:[1,0]
	v_pk_add_f32 v[98:99], v[44:45], v[42:43]
	v_pk_add_f32 v[104:105], v[42:43], v[44:45] neg_lo:[0,1] neg_hi:[0,1]
	v_pk_fma_f32 v[42:43], v[106:107], s[22:23], v[38:39] op_sel:[0,0,1] op_sel_hi:[1,0,0]
	v_pk_fma_f32 v[222:223], v[106:107], s[22:23], v[38:39] op_sel:[0,0,1] op_sel_hi:[1,0,0] neg_lo:[0,0,1] neg_hi:[0,0,1]
	v_accvgpr_write_b32 a13, v43
	v_mov_b32_e32 v43, v223
	s_mov_b32 s30, 0xbf06c442
	v_pk_add_f32 v[44:45], v[42:43], v[40:41]
	s_mov_b32 s28, 0xbf59a7d5
	v_pk_mul_f32 v[42:43], v[104:105], s[30:31] op_sel_hi:[1,0]
	v_pk_add_f32 v[92:93], v[48:49], v[50:51] neg_lo:[0,1] neg_hi:[0,1]
	v_pk_fma_f32 v[46:47], v[98:99], s[28:29], v[42:43] op_sel:[0,0,1] op_sel_hi:[1,0,0]
	v_pk_fma_f32 v[42:43], v[98:99], s[28:29], v[42:43] op_sel:[0,0,1] op_sel_hi:[1,0,0] neg_lo:[0,0,1] neg_hi:[0,0,1]
	v_accvgpr_write_b32 a15, v47
	v_mov_b32_e32 v47, v43
	s_mov_b32 s36, 0xbe3c28d5
	v_pk_add_f32 v[90:91], v[50:51], v[48:49]
	v_pk_add_f32 v[48:49], v[46:47], v[44:45]
	s_mov_b32 s34, 0xbf7ba420
	v_pk_mul_f32 v[46:47], v[92:93], s[36:37] op_sel_hi:[1,0]
	v_pk_mul_f32 v[56:57], v[140:141], s[38:39] op_sel_hi:[1,0]
	v_pk_fma_f32 v[50:51], v[90:91], s[34:35], v[46:47] op_sel:[0,0,1] op_sel_hi:[1,0,0]
	v_pk_fma_f32 v[46:47], v[90:91], s[34:35], v[46:47] op_sel:[0,0,1] op_sel_hi:[1,0,0] neg_lo:[0,0,1] neg_hi:[0,0,1]
	v_accvgpr_write_b32 a17, v51
	v_mov_b32_e32 v51, v47
	v_pk_add_f32 v[48:49], v[50:51], v[48:49]
	v_pk_mul_f32 v[50:51], v[144:145], s[40:41] op_sel_hi:[1,0]
	ds_write2_b64 v225, v[54:55], v[48:49] offset1:1
	v_pk_fma_f32 v[54:55], v[142:143], s[14:15], v[50:51] op_sel:[0,0,1] op_sel_hi:[1,0,0]
	v_pk_fma_f32 v[50:51], v[142:143], s[14:15], v[50:51] op_sel:[0,0,1] op_sel_hi:[1,0,0] neg_lo:[0,0,1] neg_hi:[0,0,1]
	v_mov_b32_e32 v47, v55
	v_mov_b32_e32 v55, v51
	v_pk_fma_f32 v[60:61], v[138:139], s[6:7], v[56:57] op_sel:[0,0,1] op_sel_hi:[1,0,0]
	v_pk_fma_f32 v[56:57], v[138:139], s[6:7], v[56:57] op_sel:[0,0,1] op_sel_hi:[1,0,0] neg_lo:[0,0,1] neg_hi:[0,0,1]
	v_pk_add_f32 v[58:59], v[12:13], v[54:55]
	v_mov_b32_e32 v223, v61
	v_mov_b32_e32 v61, v57
	v_pk_add_f32 v[62:63], v[60:61], v[58:59]
	v_pk_mul_f32 v[60:61], v[136:137], s[24:25] op_sel_hi:[1,0]
	s_mov_b32 s52, 0x3f06c442
	v_pk_fma_f32 v[64:65], v[130:131], s[22:23], v[60:61] op_sel:[0,0,1] op_sel_hi:[1,0,0]
	v_pk_fma_f32 v[60:61], v[130:131], s[22:23], v[60:61] op_sel:[0,0,1] op_sel_hi:[1,0,0] neg_lo:[0,0,1] neg_hi:[0,0,1]
	v_mov_b32_e32 v233, v65
	v_mov_b32_e32 v65, v61
	v_pk_add_f32 v[66:67], v[64:65], v[62:63]
	v_pk_mul_f32 v[64:65], v[128:129], s[36:37] op_sel_hi:[1,0]
	s_mov_b32 s50, 0x3f763a35
	v_pk_fma_f32 v[68:69], v[122:123], s[34:35], v[64:65] op_sel:[0,0,1] op_sel_hi:[1,0,0]
	v_pk_fma_f32 v[64:65], v[122:123], s[34:35], v[64:65] op_sel:[0,0,1] op_sel_hi:[1,0,0] neg_lo:[0,0,1] neg_hi:[0,0,1]
	;; [unrolled: 7-line block ×4, first 2 shown]
	v_mov_b32_e32 v76, v70
	v_mov_b32_e32 v77, v73
	v_pk_add_f32 v[78:79], v[76:77], v[74:75]
	v_pk_mul_f32 v[76:77], v[104:105], s[42:43] op_sel_hi:[1,0]
	v_pk_mul_f32 v[88:89], v[140:141], s[24:25] op_sel_hi:[1,0]
	v_pk_fma_f32 v[74:75], v[98:99], s[10:11], v[76:77] op_sel:[0,0,1] op_sel_hi:[1,0,0]
	v_pk_fma_f32 v[76:77], v[98:99], s[10:11], v[76:77] op_sel:[0,0,1] op_sel_hi:[1,0,0] neg_lo:[0,0,1] neg_hi:[0,0,1]
	v_mov_b32_e32 v80, v74
	v_mov_b32_e32 v81, v77
	v_pk_add_f32 v[82:83], v[80:81], v[78:79]
	v_pk_mul_f32 v[80:81], v[92:93], s[44:45] op_sel_hi:[1,0]
	s_mov_b32 s46, 0x3e3c28d5
	v_pk_fma_f32 v[78:79], v[90:91], s[16:17], v[80:81] op_sel:[0,0,1] op_sel_hi:[1,0,0]
	v_pk_fma_f32 v[80:81], v[90:91], s[16:17], v[80:81] op_sel:[0,0,1] op_sel_hi:[1,0,0] neg_lo:[0,0,1] neg_hi:[0,0,1]
	v_mov_b32_e32 v84, v78
	v_mov_b32_e32 v85, v81
	v_pk_add_f32 v[146:147], v[84:85], v[82:83]
	v_pk_mul_f32 v[84:85], v[144:145], s[48:49] op_sel_hi:[1,0]
	v_mov_b32_e32 v43, v118
	v_pk_fma_f32 v[82:83], v[142:143], s[10:11], v[84:85] op_sel:[0,0,1] op_sel_hi:[1,0,0]
	v_pk_fma_f32 v[84:85], v[142:143], s[10:11], v[84:85] op_sel:[0,0,1] op_sel_hi:[1,0,0] neg_lo:[0,0,1] neg_hi:[0,0,1]
	v_mov_b32_e32 v86, v82
	v_mov_b32_e32 v87, v85
	v_pk_add_f32 v[94:95], v[12:13], v[86:87]
	v_pk_fma_f32 v[86:87], v[138:139], s[22:23], v[88:89] op_sel:[0,0,1] op_sel_hi:[1,0,0]
	v_pk_fma_f32 v[88:89], v[138:139], s[22:23], v[88:89] op_sel:[0,0,1] op_sel_hi:[1,0,0] neg_lo:[0,0,1] neg_hi:[0,0,1]
	v_mov_b32_e32 v96, v86
	v_mov_b32_e32 v97, v89
	v_pk_add_f32 v[100:101], v[96:97], v[94:95]
	v_pk_mul_f32 v[96:97], v[136:137], s[46:47] op_sel_hi:[1,0]
	s_mov_b32 s46, 0x3f2c7751
	v_pk_fma_f32 v[94:95], v[130:131], s[34:35], v[96:97] op_sel:[0,0,1] op_sel_hi:[1,0,0]
	v_pk_fma_f32 v[96:97], v[130:131], s[34:35], v[96:97] op_sel:[0,0,1] op_sel_hi:[1,0,0] neg_lo:[0,0,1] neg_hi:[0,0,1]
	v_mov_b32_e32 v102, v94
	v_mov_b32_e32 v103, v97
	v_pk_add_f32 v[110:111], v[102:103], v[100:101]
	v_pk_mul_f32 v[102:103], v[128:129], s[50:51] op_sel_hi:[1,0]
	v_pk_mul_f32 v[152:153], v[140:141], s[36:37] op_sel_hi:[1,0]
	v_pk_fma_f32 v[100:101], v[122:123], s[18:19], v[102:103] op_sel:[0,0,1] op_sel_hi:[1,0,0]
	v_pk_fma_f32 v[102:103], v[122:123], s[18:19], v[102:103] op_sel:[0,0,1] op_sel_hi:[1,0,0] neg_lo:[0,0,1] neg_hi:[0,0,1]
	v_mov_b32_e32 v112, v100
	v_mov_b32_e32 v113, v103
	v_pk_add_f32 v[116:117], v[112:113], v[110:111]
	v_pk_mul_f32 v[112:113], v[120:121], s[46:47] op_sel_hi:[1,0]
	s_mov_b32 s54, 0x3f4c4adb
	v_pk_fma_f32 v[110:111], v[114:115], s[14:15], v[112:113] op_sel:[0,0,1] op_sel_hi:[1,0,0]
	v_pk_fma_f32 v[112:113], v[114:115], s[14:15], v[112:113] op_sel:[0,0,1] op_sel_hi:[1,0,0] neg_lo:[0,0,1] neg_hi:[0,0,1]
	v_mov_b32_e32 v118, v110
	v_mov_b32_e32 v119, v113
	v_pk_add_f32 v[124:125], v[118:119], v[116:117]
	v_pk_mul_f32 v[118:119], v[108:109], s[26:27] op_sel_hi:[1,0]
	v_pk_mul_f32 v[184:185], v[140:141], s[52:53] op_sel_hi:[1,0]
	v_pk_fma_f32 v[116:117], v[106:107], s[16:17], v[118:119] op_sel:[0,0,1] op_sel_hi:[1,0,0]
	v_pk_fma_f32 v[118:119], v[106:107], s[16:17], v[118:119] op_sel:[0,0,1] op_sel_hi:[1,0,0] neg_lo:[0,0,1] neg_hi:[0,0,1]
	v_mov_b32_e32 v126, v116
	v_mov_b32_e32 v127, v119
	v_pk_add_f32 v[132:133], v[126:127], v[124:125]
	v_pk_mul_f32 v[126:127], v[104:105], s[38:39] op_sel_hi:[1,0]
	v_pk_mul_f32 v[220:221], v[140:141], s[50:51] op_sel_hi:[1,0]
	v_pk_fma_f32 v[124:125], v[98:99], s[6:7], v[126:127] op_sel:[0,0,1] op_sel_hi:[1,0,0]
	v_pk_fma_f32 v[126:127], v[98:99], s[6:7], v[126:127] op_sel:[0,0,1] op_sel_hi:[1,0,0] neg_lo:[0,0,1] neg_hi:[0,0,1]
	v_mov_b32_e32 v134, v124
	v_mov_b32_e32 v135, v127
	v_pk_add_f32 v[148:149], v[134:135], v[132:133]
	v_pk_mul_f32 v[134:135], v[92:93], s[30:31] op_sel_hi:[1,0]
	v_pk_fma_f32 v[66:67], v[138:139], s[18:19], v[220:221] op_sel:[0,0,1] op_sel_hi:[1,0,0]
	v_pk_fma_f32 v[132:133], v[90:91], s[28:29], v[134:135] op_sel:[0,0,1] op_sel_hi:[1,0,0]
	v_pk_fma_f32 v[134:135], v[90:91], s[28:29], v[134:135] op_sel:[0,0,1] op_sel_hi:[1,0,0] neg_lo:[0,0,1] neg_hi:[0,0,1]
	v_mov_b32_e32 v150, v132
	v_mov_b32_e32 v151, v135
	v_pk_add_f32 v[148:149], v[150:151], v[148:149]
	ds_write2_b64 v225, v[146:147], v[148:149] offset0:2 offset1:3
	v_pk_mul_f32 v[148:149], v[144:145], s[38:39] op_sel_hi:[1,0]
	v_pk_fma_f32 v[220:221], v[138:139], s[18:19], v[220:221] op_sel:[0,0,1] op_sel_hi:[1,0,0] neg_lo:[0,0,1] neg_hi:[0,0,1]
	v_pk_fma_f32 v[146:147], v[142:143], s[6:7], v[148:149] op_sel:[0,0,1] op_sel_hi:[1,0,0]
	v_pk_fma_f32 v[148:149], v[142:143], s[6:7], v[148:149] op_sel:[0,0,1] op_sel_hi:[1,0,0] neg_lo:[0,0,1] neg_hi:[0,0,1]
	v_mov_b32_e32 v150, v146
	v_mov_b32_e32 v151, v149
	v_pk_add_f32 v[154:155], v[12:13], v[150:151]
	v_pk_fma_f32 v[150:151], v[138:139], s[34:35], v[152:153] op_sel:[0,0,1] op_sel_hi:[1,0,0]
	v_pk_fma_f32 v[152:153], v[138:139], s[34:35], v[152:153] op_sel:[0,0,1] op_sel_hi:[1,0,0] neg_lo:[0,0,1] neg_hi:[0,0,1]
	v_mov_b32_e32 v156, v150
	v_mov_b32_e32 v157, v153
	v_pk_add_f32 v[158:159], v[156:157], v[154:155]
	v_pk_mul_f32 v[156:157], v[136:137], s[50:51] op_sel_hi:[1,0]
	v_mov_b32_e32 v226, v66
	v_pk_fma_f32 v[154:155], v[130:131], s[18:19], v[156:157] op_sel:[0,0,1] op_sel_hi:[1,0,0]
	v_pk_fma_f32 v[156:157], v[130:131], s[18:19], v[156:157] op_sel:[0,0,1] op_sel_hi:[1,0,0] neg_lo:[0,0,1] neg_hi:[0,0,1]
	v_mov_b32_e32 v160, v154
	v_mov_b32_e32 v161, v157
	v_pk_add_f32 v[162:163], v[160:161], v[158:159]
	v_pk_mul_f32 v[160:161], v[128:129], s[44:45] op_sel_hi:[1,0]
	v_mov_b32_e32 v227, v221
	v_pk_fma_f32 v[158:159], v[122:123], s[16:17], v[160:161] op_sel:[0,0,1] op_sel_hi:[1,0,0]
	v_pk_fma_f32 v[160:161], v[122:123], s[16:17], v[160:161] op_sel:[0,0,1] op_sel_hi:[1,0,0] neg_lo:[0,0,1] neg_hi:[0,0,1]
	v_mov_b32_e32 v164, v158
	v_mov_b32_e32 v165, v161
	v_pk_add_f32 v[166:167], v[164:165], v[162:163]
	v_pk_mul_f32 v[164:165], v[120:121], s[48:49] op_sel_hi:[1,0]
	v_pk_mul_f32 v[212:213], v[140:141], s[42:43] op_sel_hi:[1,0]
	v_pk_fma_f32 v[162:163], v[114:115], s[10:11], v[164:165] op_sel:[0,0,1] op_sel_hi:[1,0,0]
	v_pk_fma_f32 v[164:165], v[114:115], s[10:11], v[164:165] op_sel:[0,0,1] op_sel_hi:[1,0,0] neg_lo:[0,0,1] neg_hi:[0,0,1]
	v_mov_b32_e32 v168, v162
	v_mov_b32_e32 v169, v165
	v_pk_add_f32 v[170:171], v[168:169], v[166:167]
	v_pk_mul_f32 v[168:169], v[108:109], s[30:31] op_sel_hi:[1,0]
	v_pk_fma_f32 v[38:39], v[138:139], s[10:11], v[212:213] op_sel:[0,0,1] op_sel_hi:[1,0,0]
	v_pk_fma_f32 v[166:167], v[106:107], s[28:29], v[168:169] op_sel:[0,0,1] op_sel_hi:[1,0,0]
	v_pk_fma_f32 v[168:169], v[106:107], s[28:29], v[168:169] op_sel:[0,0,1] op_sel_hi:[1,0,0] neg_lo:[0,0,1] neg_hi:[0,0,1]
	v_mov_b32_e32 v172, v166
	v_mov_b32_e32 v173, v169
	v_pk_add_f32 v[174:175], v[172:173], v[170:171]
	v_pk_mul_f32 v[172:173], v[104:105], s[54:55] op_sel_hi:[1,0]
	v_pk_fma_f32 v[212:213], v[138:139], s[10:11], v[212:213] op_sel:[0,0,1] op_sel_hi:[1,0,0] neg_lo:[0,0,1] neg_hi:[0,0,1]
	v_pk_fma_f32 v[170:171], v[98:99], s[22:23], v[172:173] op_sel:[0,0,1] op_sel_hi:[1,0,0]
	v_pk_fma_f32 v[172:173], v[98:99], s[22:23], v[172:173] op_sel:[0,0,1] op_sel_hi:[1,0,0] neg_lo:[0,0,1] neg_hi:[0,0,1]
	v_mov_b32_e32 v176, v170
	v_mov_b32_e32 v177, v173
	v_pk_add_f32 v[178:179], v[176:177], v[174:175]
	v_pk_mul_f32 v[176:177], v[92:93], s[46:47] op_sel_hi:[1,0]
	v_mov_b32_e32 v8, v38
	v_pk_fma_f32 v[174:175], v[90:91], s[14:15], v[176:177] op_sel:[0,0,1] op_sel_hi:[1,0,0]
	v_pk_fma_f32 v[176:177], v[90:91], s[14:15], v[176:177] op_sel:[0,0,1] op_sel_hi:[1,0,0] neg_lo:[0,0,1] neg_hi:[0,0,1]
	v_mov_b32_e32 v180, v174
	v_mov_b32_e32 v181, v177
	v_pk_add_f32 v[214:215], v[180:181], v[178:179]
	v_pk_mul_f32 v[180:181], v[144:145], s[20:21] op_sel_hi:[1,0]
	v_mov_b32_e32 v9, v213
	v_pk_fma_f32 v[178:179], v[142:143], s[18:19], v[180:181] op_sel:[0,0,1] op_sel_hi:[1,0,0]
	v_pk_fma_f32 v[180:181], v[142:143], s[18:19], v[180:181] op_sel:[0,0,1] op_sel_hi:[1,0,0] neg_lo:[0,0,1] neg_hi:[0,0,1]
	v_mov_b32_e32 v182, v178
	v_mov_b32_e32 v183, v181
	v_pk_add_f32 v[186:187], v[12:13], v[182:183]
	v_pk_fma_f32 v[182:183], v[138:139], s[28:29], v[184:185] op_sel:[0,0,1] op_sel_hi:[1,0,0]
	v_pk_fma_f32 v[184:185], v[138:139], s[28:29], v[184:185] op_sel:[0,0,1] op_sel_hi:[1,0,0] neg_lo:[0,0,1] neg_hi:[0,0,1]
	v_mov_b32_e32 v188, v182
	v_mov_b32_e32 v189, v185
	v_pk_add_f32 v[190:191], v[188:189], v[186:187]
	v_pk_mul_f32 v[188:189], v[136:137], s[46:47] op_sel_hi:[1,0]
	v_pk_mul_f32 v[140:141], v[140:141], s[44:45] op_sel_hi:[1,0]
	v_pk_fma_f32 v[186:187], v[130:131], s[14:15], v[188:189] op_sel:[0,0,1] op_sel_hi:[1,0,0]
	v_pk_fma_f32 v[188:189], v[130:131], s[14:15], v[188:189] op_sel:[0,0,1] op_sel_hi:[1,0,0] neg_lo:[0,0,1] neg_hi:[0,0,1]
	v_mov_b32_e32 v192, v186
	v_mov_b32_e32 v193, v189
	v_pk_add_f32 v[194:195], v[192:193], v[190:191]
	v_pk_mul_f32 v[192:193], v[128:129], s[48:49] op_sel_hi:[1,0]
	s_mov_b32 s48, 0x3f7ee86f
	v_pk_fma_f32 v[190:191], v[122:123], s[10:11], v[192:193] op_sel:[0,0,1] op_sel_hi:[1,0,0]
	v_pk_fma_f32 v[192:193], v[122:123], s[10:11], v[192:193] op_sel:[0,0,1] op_sel_hi:[1,0,0] neg_lo:[0,0,1] neg_hi:[0,0,1]
	v_mov_b32_e32 v196, v190
	v_mov_b32_e32 v197, v193
	v_pk_add_f32 v[198:199], v[196:197], v[194:195]
	v_pk_mul_f32 v[196:197], v[120:121], s[36:37] op_sel_hi:[1,0]
	v_mov_b32_e32 v213, v39
	v_pk_fma_f32 v[194:195], v[114:115], s[34:35], v[196:197] op_sel:[0,0,1] op_sel_hi:[1,0,0]
	v_pk_fma_f32 v[196:197], v[114:115], s[34:35], v[196:197] op_sel:[0,0,1] op_sel_hi:[1,0,0] neg_lo:[0,0,1] neg_hi:[0,0,1]
	v_mov_b32_e32 v200, v194
	v_mov_b32_e32 v201, v197
	v_pk_add_f32 v[202:203], v[200:201], v[198:199]
	v_pk_mul_f32 v[200:201], v[108:109], s[48:49] op_sel_hi:[1,0]
	v_mov_b32_e32 v221, v67
	;; [unrolled: 7-line block ×4, first 2 shown]
	v_pk_fma_f32 v[206:207], v[90:91], s[22:23], v[208:209] op_sel:[0,0,1] op_sel_hi:[1,0,0]
	v_pk_fma_f32 v[208:209], v[90:91], s[22:23], v[208:209] op_sel:[0,0,1] op_sel_hi:[1,0,0] neg_lo:[0,0,1] neg_hi:[0,0,1]
	v_mov_b32_e32 v218, v206
	v_mov_b32_e32 v219, v209
	v_pk_add_f32 v[216:217], v[218:219], v[216:217]
	ds_write2_b64 v225, v[214:215], v[216:217] offset0:4 offset1:5
	v_pk_mul_f32 v[214:215], v[144:145], s[24:25] op_sel_hi:[1,0]
	v_mov_b32_e32 v185, v183
	v_pk_fma_f32 v[216:217], v[142:143], s[22:23], v[214:215] op_sel:[0,0,1] op_sel_hi:[1,0,0]
	v_pk_fma_f32 v[214:215], v[142:143], s[22:23], v[214:215] op_sel:[0,0,1] op_sel_hi:[1,0,0] neg_lo:[0,0,1] neg_hi:[0,0,1]
	v_mov_b32_e32 v218, v216
	v_mov_b32_e32 v219, v215
	v_pk_add_f32 v[218:219], v[12:13], v[218:219]
	v_mov_b32_e32 v215, v217
	v_pk_add_f32 v[218:219], v[226:227], v[218:219]
	v_pk_mul_f32 v[226:227], v[136:137], s[26:27] op_sel_hi:[1,0]
	v_mov_b32_e32 v153, v151
	v_pk_fma_f32 v[62:63], v[130:131], s[16:17], v[226:227] op_sel:[0,0,1] op_sel_hi:[1,0,0]
	v_pk_fma_f32 v[226:227], v[130:131], s[16:17], v[226:227] op_sel:[0,0,1] op_sel_hi:[1,0,0] neg_lo:[0,0,1] neg_hi:[0,0,1]
	v_mov_b32_e32 v230, v62
	v_mov_b32_e32 v231, v227
	v_pk_add_f32 v[218:219], v[230:231], v[218:219]
	v_pk_mul_f32 v[230:231], v[128:129], s[30:31] op_sel_hi:[1,0]
	v_mov_b32_e32 v227, v63
	v_pk_fma_f32 v[58:59], v[122:123], s[28:29], v[230:231] op_sel:[0,0,1] op_sel_hi:[1,0,0]
	v_pk_fma_f32 v[230:231], v[122:123], s[28:29], v[230:231] op_sel:[0,0,1] op_sel_hi:[1,0,0] neg_lo:[0,0,1] neg_hi:[0,0,1]
	v_mov_b32_e32 v234, v58
	;; [unrolled: 7-line block ×7, first 2 shown]
	v_mov_b32_e32 v255, v251
	v_pk_add_f32 v[254:255], v[12:13], v[254:255]
	v_mov_b32_e32 v251, v253
	v_pk_add_f32 v[8:9], v[8:9], v[254:255]
	v_pk_mul_f32 v[254:255], v[136:137], s[38:39] op_sel_hi:[1,0]
	v_pk_mul_f32 v[136:137], v[136:137], s[30:31] op_sel_hi:[1,0]
	v_pk_fma_f32 v[228:229], v[130:131], s[6:7], v[254:255] op_sel:[0,0,1] op_sel_hi:[1,0,0]
	v_pk_fma_f32 v[254:255], v[130:131], s[6:7], v[254:255] op_sel:[0,0,1] op_sel_hi:[1,0,0] neg_lo:[0,0,1] neg_hi:[0,0,1]
	v_mov_b32_e32 v52, v228
	v_mov_b32_e32 v53, v255
	v_pk_add_f32 v[8:9], v[52:53], v[8:9]
	v_pk_mul_f32 v[52:53], v[128:129], s[54:55] op_sel_hi:[1,0]
	v_pk_mul_f32 v[128:129], v[128:129], s[46:47] op_sel_hi:[1,0]
	v_pk_fma_f32 v[36:37], v[122:123], s[22:23], v[52:53] op_sel:[0,0,1] op_sel_hi:[1,0,0]
	v_pk_fma_f32 v[52:53], v[122:123], s[22:23], v[52:53] op_sel:[0,0,1] op_sel_hi:[1,0,0] neg_lo:[0,0,1] neg_hi:[0,0,1]
	v_mov_b32_e32 v10, v36
	;; [unrolled: 7-line block ×6, first 2 shown]
	v_mov_b32_e32 v21, v19
	v_pk_add_f32 v[8:9], v[20:21], v[8:9]
	ds_write2_b64 v225, v[218:219], v[8:9] offset0:6 offset1:7
	v_pk_mul_f32 v[8:9], v[144:145], s[36:37] op_sel_hi:[1,0]
	v_mov_b32_e32 v255, v229
	v_pk_fma_f32 v[20:21], v[142:143], s[34:35], v[8:9] op_sel:[0,0,1] op_sel_hi:[1,0,0]
	v_pk_fma_f32 v[8:9], v[142:143], s[34:35], v[8:9] op_sel:[0,0,1] op_sel_hi:[1,0,0] neg_lo:[0,0,1] neg_hi:[0,0,1]
	v_pk_fma_f32 v[142:143], v[138:139], s[16:17], v[140:141] op_sel:[0,0,1] op_sel_hi:[1,0,0]
	v_pk_fma_f32 v[138:139], v[138:139], s[16:17], v[140:141] op_sel:[0,0,1] op_sel_hi:[1,0,0] neg_lo:[0,0,1] neg_hi:[0,0,1]
	v_mov_b32_e32 v140, v20
	v_mov_b32_e32 v141, v9
	v_pk_add_f32 v[140:141], v[12:13], v[140:141]
	v_mov_b32_e32 v144, v142
	v_mov_b32_e32 v145, v139
	v_pk_add_f32 v[140:141], v[144:145], v[140:141]
	v_pk_fma_f32 v[144:145], v[130:131], s[28:29], v[136:137] op_sel:[0,0,1] op_sel_hi:[1,0,0]
	v_pk_fma_f32 v[130:131], v[130:131], s[28:29], v[136:137] op_sel:[0,0,1] op_sel_hi:[1,0,0] neg_lo:[0,0,1] neg_hi:[0,0,1]
	v_mov_b32_e32 v136, v144
	v_mov_b32_e32 v137, v131
	v_pk_add_f32 v[136:137], v[136:137], v[140:141]
	v_pk_fma_f32 v[140:141], v[122:123], s[14:15], v[128:129] op_sel:[0,0,1] op_sel_hi:[1,0,0]
	v_pk_fma_f32 v[122:123], v[122:123], s[14:15], v[128:129] op_sel:[0,0,1] op_sel_hi:[1,0,0] neg_lo:[0,0,1] neg_hi:[0,0,1]
	;; [unrolled: 5-line block ×3, first 2 shown]
	v_mov_b32_e32 v9, v21
	v_mov_b32_e32 v120, v136
	;; [unrolled: 1-line block ×4, first 2 shown]
	v_pk_add_f32 v[8:9], v[12:13], v[8:9]
	v_pk_add_f32 v[120:121], v[120:121], v[128:129]
	v_pk_fma_f32 v[128:129], v[106:107], s[10:11], v[108:109] op_sel:[0,0,1] op_sel_hi:[1,0,0]
	v_pk_fma_f32 v[106:107], v[106:107], s[10:11], v[108:109] op_sel:[0,0,1] op_sel_hi:[1,0,0] neg_lo:[0,0,1] neg_hi:[0,0,1]
	v_pk_add_f32 v[8:9], v[138:139], v[8:9]
	v_mov_b32_e32 v131, v145
	v_mov_b32_e32 v108, v128
	v_mov_b32_e32 v109, v107
	v_pk_add_f32 v[8:9], v[130:131], v[8:9]
	v_mov_b32_e32 v123, v141
	v_pk_add_f32 v[108:109], v[108:109], v[120:121]
	v_pk_fma_f32 v[120:121], v[98:99], s[18:19], v[104:105] op_sel:[0,0,1] op_sel_hi:[1,0,0]
	v_pk_fma_f32 v[98:99], v[98:99], s[18:19], v[104:105] op_sel:[0,0,1] op_sel_hi:[1,0,0] neg_lo:[0,0,1] neg_hi:[0,0,1]
	v_pk_add_f32 v[8:9], v[122:123], v[8:9]
	v_mov_b32_e32 v115, v137
	v_mov_b32_e32 v104, v120
	v_mov_b32_e32 v105, v99
	v_pk_add_f32 v[8:9], v[114:115], v[8:9]
	v_mov_b32_e32 v107, v129
	;; [unrolled: 9-line block ×3, first 2 shown]
	v_pk_add_f32 v[92:93], v[92:93], v[104:105]
	v_pk_add_f32 v[8:9], v[90:91], v[8:9]
	ds_write2_b64 v225, v[92:93], v[8:9] offset0:8 offset1:9
	v_pk_add_f32 v[8:9], v[12:13], v[250:251]
	v_mov_b32_e32 v53, v37
	v_pk_add_f32 v[8:9], v[212:213], v[8:9]
	v_mov_b32_e32 v11, v35
	;; [unrolled: 2-line block ×4, first 2 shown]
	v_pk_add_f32 v[8:9], v[10:11], v[8:9]
	v_pk_add_f32 v[10:11], v[12:13], v[214:215]
	;; [unrolled: 1-line block ×6, first 2 shown]
	v_mov_b32_e32 v19, v23
	v_pk_add_f32 v[10:11], v[230:231], v[10:11]
	v_pk_add_f32 v[8:9], v[18:19], v[8:9]
	;; [unrolled: 1-line block ×3, first 2 shown]
	v_mov_b32_e32 v189, v187
	v_pk_add_f32 v[10:11], v[238:239], v[10:11]
	v_mov_b32_e32 v157, v155
	v_pk_add_f32 v[10:11], v[242:243], v[10:11]
	;; [unrolled: 2-line block ×3, first 2 shown]
	ds_write2_b64 v225, v[8:9], v[10:11] offset0:10 offset1:11
	v_pk_add_f32 v[8:9], v[12:13], v[180:181]
	v_pk_add_f32 v[10:11], v[12:13], v[148:149]
	;; [unrolled: 1-line block ×6, first 2 shown]
	v_mov_b32_e32 v161, v159
	v_pk_add_f32 v[8:9], v[192:193], v[8:9]
	v_mov_b32_e32 v197, v195
	v_pk_add_f32 v[10:11], v[160:161], v[10:11]
	;; [unrolled: 2-line block ×9, first 2 shown]
	v_pk_add_f32 v[10:11], v[176:177], v[10:11]
	v_mov_b32_e32 v85, v83
	v_mov_b32_e32 v51, v47
	ds_write2_b64 v225, v[8:9], v[10:11] offset0:12 offset1:13
	v_pk_add_f32 v[8:9], v[12:13], v[84:85]
	v_mov_b32_e32 v89, v87
	v_pk_add_f32 v[10:11], v[12:13], v[50:51]
	v_mov_b32_e32 v57, v223
	;; [unrolled: 2-line block ×14, first 2 shown]
	v_pk_add_f32 v[8:9], v[134:135], v[8:9]
	v_pk_add_f32 v[10:11], v[80:81], v[10:11]
	v_accvgpr_read_b32 v249, a3
	ds_write2_b64 v225, v[8:9], v[10:11] offset0:14 offset1:15
	v_pk_add_f32 v[8:9], v[12:13], v[248:249]
	v_accvgpr_read_b32 v245, a5
	v_pk_add_f32 v[8:9], v[244:245], v[8:9]
	v_accvgpr_read_b32 v241, a7
	v_pk_add_f32 v[8:9], v[240:241], v[8:9]
	v_accvgpr_read_b32 v237, a9
	v_pk_add_f32 v[8:9], v[236:237], v[8:9]
	v_accvgpr_read_b32 v233, a11
	v_pk_add_f32 v[8:9], v[232:233], v[8:9]
	v_accvgpr_read_b32 v223, a13
	v_mov_b32_e32 v118, v43
	v_pk_add_f32 v[8:9], v[222:223], v[8:9]
	v_accvgpr_read_b32 v43, a15
	v_pk_add_f32 v[8:9], v[42:43], v[8:9]
	v_accvgpr_read_b32 v47, a17
	v_pk_add_f32 v[8:9], v[46:47], v[8:9]
	ds_write_b64 v225, v[8:9] offset:128
	v_accvgpr_read_b32 v225, a0
.LBB0_13:
	s_or_b64 exec, exec, s[4:5]
	s_waitcnt lgkmcnt(0)
	s_barrier
	ds_read2_b64 v[8:11], v118 offset1:17
	ds_read2_b64 v[12:15], v118 offset0:34 offset1:51
	ds_read2_b64 v[16:19], v118 offset0:68 offset1:85
	s_mov_b32 s6, 0x3f5db3d7
	s_mov_b32 s10, 0.5
	s_waitcnt lgkmcnt(2)
	v_pk_mul_f32 v[20:21], v[4:5], v[10:11] op_sel:[1,0]
	s_waitcnt lgkmcnt(1)
	v_pk_mul_f32 v[6:7], v[6:7], v[12:13]
	v_pk_fma_f32 v[22:23], v[4:5], v[10:11], v[20:21] op_sel:[0,0,1] op_sel_hi:[0,1,0]
	v_pk_fma_f32 v[4:5], v[4:5], v[10:11], v[20:21] op_sel:[0,0,1] op_sel_hi:[0,1,0] neg_lo:[0,0,1] neg_hi:[0,0,1]
	v_pk_fma_f32 v[10:11], v[28:29], v[12:13], v[6:7] op_sel:[0,0,1] op_sel_hi:[1,1,0]
	v_pk_fma_f32 v[6:7], v[28:29], v[12:13], v[6:7] op_sel:[0,0,1] op_sel_hi:[1,1,0] neg_lo:[0,0,1] neg_hi:[0,0,1]
	v_mov_b32_e32 v23, v5
	v_mov_b32_e32 v11, v7
	v_pk_mul_f32 v[6:7], v[0:1], v[14:15] op_sel:[1,0]
	v_mov_b32_e32 v4, v22
	v_pk_fma_f32 v[12:13], v[0:1], v[14:15], v[6:7] op_sel:[0,0,1] op_sel_hi:[1,1,0]
	v_pk_fma_f32 v[0:1], v[0:1], v[14:15], v[6:7] op_sel:[0,0,1] op_sel_hi:[0,1,0] neg_lo:[0,0,1] neg_hi:[0,0,1]
	v_mov_b32_e32 v13, v1
	s_waitcnt lgkmcnt(0)
	v_pk_mul_f32 v[0:1], v[2:3], v[16:17]
	s_mov_b32 s11, s6
	v_pk_fma_f32 v[2:3], v[26:27], v[16:17], v[0:1] op_sel:[0,0,1] op_sel_hi:[1,1,0]
	v_pk_fma_f32 v[0:1], v[26:27], v[16:17], v[0:1] op_sel:[0,0,1] op_sel_hi:[1,1,0] neg_lo:[0,0,1] neg_hi:[0,0,1]
	s_mov_b32 s4, -0.5
	v_mov_b32_e32 v3, v1
	v_pk_mul_f32 v[0:1], v[24:25], v[18:19] op_sel:[1,0]
	s_mov_b32 s5, s6
	v_pk_fma_f32 v[6:7], v[24:25], v[18:19], v[0:1] op_sel:[0,0,1] op_sel_hi:[1,1,0]
	v_pk_fma_f32 v[0:1], v[24:25], v[18:19], v[0:1] op_sel:[0,0,1] op_sel_hi:[0,1,0] neg_lo:[0,0,1] neg_hi:[0,0,1]
	v_mov_b32_e32 v7, v1
	v_pk_add_f32 v[0:1], v[8:9], v[10:11]
	v_pk_add_f32 v[14:15], v[12:13], v[6:7]
	v_pk_add_f32 v[0:1], v[0:1], v[2:3]
	v_pk_add_f32 v[16:17], v[12:13], v[6:7] neg_lo:[0,1] neg_hi:[0,1]
	v_pk_add_f32 v[12:13], v[22:23], v[12:13]
	v_fmac_f32_e32 v5, -0.5, v15
	v_pk_add_f32 v[18:19], v[10:11], v[2:3]
	v_pk_add_f32 v[2:3], v[10:11], v[2:3] neg_lo:[0,1] neg_hi:[0,1]
	v_fmac_f32_e32 v4, -0.5, v14
	v_pk_add_f32 v[6:7], v[12:13], v[6:7]
	v_fmamk_f32 v12, v16, 0x3f5db3d7, v5
	v_pk_mul_f32 v[2:3], v[2:3], s[6:7] op_sel_hi:[1,0]
	s_mov_b32 s7, s10
	v_fmamk_f32 v14, v17, 0xbf5db3d7, v4
	v_pk_fma_f32 v[8:9], -0.5, v[18:19], v[8:9] op_sel_hi:[0,1,1]
	v_pk_mul_f32 v[12:13], v[12:13], s[6:7] op_sel_hi:[0,1]
	v_pk_add_f32 v[10:11], v[8:9], v[2:3] op_sel:[0,1] op_sel_hi:[1,0] neg_lo:[0,1] neg_hi:[0,1]
	v_pk_add_f32 v[2:3], v[8:9], v[2:3] op_sel:[0,1] op_sel_hi:[1,0]
	v_pk_fma_f32 v[18:19], v[14:15], s[10:11], v[12:13] neg_lo:[0,0,1] neg_hi:[0,0,1]
	v_pk_fma_f32 v[12:13], v[14:15], s[10:11], v[12:13] op_sel_hi:[0,1,1]
	v_fmac_f32_e32 v5, 0xbf5db3d7, v16
	v_mov_b32_e32 v8, v10
	v_mov_b32_e32 v9, v3
	;; [unrolled: 1-line block ×3, first 2 shown]
	v_fmac_f32_e32 v4, 0x3f5db3d7, v17
	v_pk_add_f32 v[16:17], v[0:1], v[6:7]
	v_pk_add_f32 v[12:13], v[8:9], v[18:19]
	v_mov_b32_e32 v10, v5
	ds_write2_b64 v210, v[16:17], v[12:13] offset1:17
	v_pk_mul_f32 v[12:13], v[10:11], s[6:7] op_sel_hi:[0,1]
	v_pk_fma_f32 v[4:5], v[4:5], s[4:5], v[12:13] op_sel_hi:[0,1,1] neg_lo:[0,0,1] neg_hi:[0,0,1]
	v_mov_b32_e32 v3, v11
	v_pk_add_f32 v[10:11], v[2:3], v[4:5]
	v_pk_add_f32 v[0:1], v[0:1], v[6:7] neg_lo:[0,1] neg_hi:[0,1]
	ds_write2_b64 v210, v[10:11], v[0:1] offset0:34 offset1:51
	v_pk_add_f32 v[0:1], v[8:9], v[18:19] neg_lo:[0,1] neg_hi:[0,1]
	v_pk_add_f32 v[2:3], v[2:3], v[4:5] neg_lo:[0,1] neg_hi:[0,1]
	ds_write2_b64 v210, v[0:1], v[2:3] offset0:68 offset1:85
	s_waitcnt lgkmcnt(0)
	s_barrier
	s_and_b64 exec, exec, vcc
	s_cbranch_execz .LBB0_15
; %bb.14:
	global_load_dwordx2 v[2:3], v211, s[8:9]
	ds_read_b64 v[6:7], v210
	v_mad_u64_u32 v[4:5], s[4:5], s2, v224, 0
	v_mov_b32_e32 v10, v5
	v_mad_u64_u32 v[10:11], s[2:3], s3, v224, v[10:11]
	v_mov_b32_e32 v0, s12
	v_mov_b32_e32 v1, s13
	;; [unrolled: 1-line block ×3, first 2 shown]
	v_mad_u64_u32 v[8:9], s[6:7], s0, v225, 0
	v_lshl_add_u64 v[0:1], v[4:5], 3, v[0:1]
	s_mov_b32 s4, 0x14141414
	v_mov_b32_e32 v12, v9
	s_mov_b32 s5, 0x3f841414
	v_mad_u64_u32 v[12:13], s[2:3], s1, v225, v[12:13]
	v_mov_b32_e32 v9, v12
	v_lshl_add_u64 v[8:9], v[8:9], 3, v[0:1]
	s_mul_i32 s2, s1, 48
	v_accvgpr_read_b32 v11, a2
	v_mov_b32_e32 v12, 0x60
	s_mul_i32 s3, s1, 0x60
	s_waitcnt vmcnt(0) lgkmcnt(0)
	v_mul_f32_e32 v4, v7, v3
	v_mul_f32_e32 v3, v6, v3
	v_fmac_f32_e32 v4, v6, v2
	v_fma_f32 v5, v2, v7, -v3
	v_cvt_f64_f32_e32 v[2:3], v4
	v_cvt_f64_f32_e32 v[4:5], v5
	v_mul_f64 v[2:3], v[2:3], s[4:5]
	v_mul_f64 v[4:5], v[4:5], s[4:5]
	v_cvt_f32_f64_e32 v2, v[2:3]
	v_cvt_f32_f64_e32 v3, v[4:5]
	global_store_dwordx2 v[8:9], v[2:3], off
	global_load_dwordx2 v[6:7], v211, s[8:9] offset:48
	ds_read2_b64 v[2:5], v210 offset0:6 offset1:12
	v_mad_u64_u32 v[8:9], s[6:7], s0, 48, v[8:9]
	v_add_u32_e32 v9, s2, v9
	s_waitcnt vmcnt(0) lgkmcnt(0)
	v_mul_f32_e32 v10, v3, v7
	v_mul_f32_e32 v7, v2, v7
	v_fmac_f32_e32 v10, v2, v6
	v_fma_f32 v6, v6, v3, -v7
	v_cvt_f64_f32_e32 v[2:3], v10
	v_cvt_f64_f32_e32 v[6:7], v6
	v_mul_f64 v[2:3], v[2:3], s[4:5]
	v_mul_f64 v[6:7], v[6:7], s[4:5]
	v_cvt_f32_f64_e32 v2, v[2:3]
	v_cvt_f32_f64_e32 v3, v[6:7]
	global_store_dwordx2 v[8:9], v[2:3], off
	global_load_dwordx2 v[2:3], v211, s[8:9] offset:96
	v_mad_u64_u32 v[6:7], s[6:7], s0, 48, v[8:9]
	v_add_u32_e32 v7, s2, v7
	s_waitcnt vmcnt(0)
	v_mul_f32_e32 v8, v5, v3
	v_mul_f32_e32 v3, v4, v3
	v_fmac_f32_e32 v8, v4, v2
	v_fma_f32 v4, v2, v5, -v3
	v_cvt_f64_f32_e32 v[2:3], v8
	v_cvt_f64_f32_e32 v[4:5], v4
	v_mul_f64 v[2:3], v[2:3], s[4:5]
	v_mul_f64 v[4:5], v[4:5], s[4:5]
	v_cvt_f32_f64_e32 v2, v[2:3]
	v_cvt_f32_f64_e32 v3, v[4:5]
	global_store_dwordx2 v[6:7], v[2:3], off
	global_load_dwordx2 v[8:9], v211, s[8:9] offset:144
	ds_read2_b64 v[2:5], v210 offset0:18 offset1:24
	v_mad_u64_u32 v[6:7], s[6:7], s0, 48, v[6:7]
	v_add_u32_e32 v7, s2, v7
	s_waitcnt vmcnt(0) lgkmcnt(0)
	v_mul_f32_e32 v10, v3, v9
	v_mul_f32_e32 v9, v2, v9
	v_fmac_f32_e32 v10, v2, v8
	v_fma_f32 v8, v8, v3, -v9
	v_cvt_f64_f32_e32 v[2:3], v10
	v_cvt_f64_f32_e32 v[8:9], v8
	v_mul_f64 v[2:3], v[2:3], s[4:5]
	v_mul_f64 v[8:9], v[8:9], s[4:5]
	v_cvt_f32_f64_e32 v2, v[2:3]
	v_cvt_f32_f64_e32 v3, v[8:9]
	global_store_dwordx2 v[6:7], v[2:3], off
	global_load_dwordx2 v[2:3], v211, s[8:9] offset:192
	v_mad_u64_u32 v[8:9], s[6:7], s0, v11, 0
	v_mov_b32_e32 v10, v9
	v_mad_u64_u32 v[10:11], s[6:7], s1, v11, v[10:11]
	v_mov_b32_e32 v9, v10
	v_lshl_add_u64 v[8:9], v[8:9], 3, v[0:1]
	v_mad_u64_u32 v[6:7], s[6:7], s0, v12, v[6:7]
	v_add_u32_e32 v7, s3, v7
	v_accvgpr_read_b32 v11, a1
	s_waitcnt vmcnt(0)
	v_mul_f32_e32 v10, v5, v3
	v_mul_f32_e32 v3, v4, v3
	v_fmac_f32_e32 v10, v4, v2
	v_fma_f32 v4, v2, v5, -v3
	v_cvt_f64_f32_e32 v[2:3], v10
	v_cvt_f64_f32_e32 v[4:5], v4
	v_mul_f64 v[2:3], v[2:3], s[4:5]
	v_mul_f64 v[4:5], v[4:5], s[4:5]
	v_cvt_f32_f64_e32 v2, v[2:3]
	v_cvt_f32_f64_e32 v3, v[4:5]
	global_store_dwordx2 v[8:9], v[2:3], off
	global_load_dwordx2 v[8:9], v211, s[8:9] offset:240
	ds_read2_b64 v[2:5], v210 offset0:30 offset1:36
	s_waitcnt vmcnt(0) lgkmcnt(0)
	v_mul_f32_e32 v10, v3, v9
	v_mul_f32_e32 v9, v2, v9
	v_fmac_f32_e32 v10, v2, v8
	v_fma_f32 v8, v8, v3, -v9
	v_cvt_f64_f32_e32 v[2:3], v10
	v_cvt_f64_f32_e32 v[8:9], v8
	v_mul_f64 v[2:3], v[2:3], s[4:5]
	v_mul_f64 v[8:9], v[8:9], s[4:5]
	v_cvt_f32_f64_e32 v2, v[2:3]
	v_cvt_f32_f64_e32 v3, v[8:9]
	global_store_dwordx2 v[6:7], v[2:3], off
	global_load_dwordx2 v[2:3], v211, s[8:9] offset:288
	v_mad_u64_u32 v[6:7], s[6:7], s0, 48, v[6:7]
	v_add_u32_e32 v7, s2, v7
	s_waitcnt vmcnt(0)
	v_mul_f32_e32 v8, v5, v3
	v_mul_f32_e32 v3, v4, v3
	v_fmac_f32_e32 v8, v4, v2
	v_fma_f32 v4, v2, v5, -v3
	v_cvt_f64_f32_e32 v[2:3], v8
	v_cvt_f64_f32_e32 v[4:5], v4
	v_mul_f64 v[2:3], v[2:3], s[4:5]
	v_mul_f64 v[4:5], v[4:5], s[4:5]
	v_cvt_f32_f64_e32 v2, v[2:3]
	v_cvt_f32_f64_e32 v3, v[4:5]
	global_store_dwordx2 v[6:7], v[2:3], off
	global_load_dwordx2 v[8:9], v211, s[8:9] offset:336
	ds_read2_b64 v[2:5], v210 offset0:42 offset1:48
	v_mad_u64_u32 v[6:7], s[6:7], s0, 48, v[6:7]
	v_add_u32_e32 v7, s2, v7
	s_waitcnt vmcnt(0) lgkmcnt(0)
	v_mul_f32_e32 v10, v3, v9
	v_mul_f32_e32 v9, v2, v9
	v_fmac_f32_e32 v10, v2, v8
	v_fma_f32 v8, v8, v3, -v9
	v_cvt_f64_f32_e32 v[2:3], v10
	v_cvt_f64_f32_e32 v[8:9], v8
	v_mul_f64 v[2:3], v[2:3], s[4:5]
	v_mul_f64 v[8:9], v[8:9], s[4:5]
	v_cvt_f32_f64_e32 v2, v[2:3]
	v_cvt_f32_f64_e32 v3, v[8:9]
	global_store_dwordx2 v[6:7], v[2:3], off
	global_load_dwordx2 v[2:3], v211, s[8:9] offset:384
	v_mad_u64_u32 v[8:9], s[6:7], s0, v11, 0
	v_mov_b32_e32 v10, v9
	v_mad_u64_u32 v[10:11], s[6:7], s1, v11, v[10:11]
	v_mov_b32_e32 v9, v10
	v_lshl_add_u64 v[8:9], v[8:9], 3, v[0:1]
	v_mad_u64_u32 v[6:7], s[6:7], s0, v12, v[6:7]
	v_add_u32_e32 v7, s3, v7
	v_or_b32_e32 v11, 0x48, v225
	s_waitcnt vmcnt(0)
	v_mul_f32_e32 v10, v5, v3
	v_mul_f32_e32 v3, v4, v3
	v_fmac_f32_e32 v10, v4, v2
	v_fma_f32 v4, v2, v5, -v3
	v_cvt_f64_f32_e32 v[2:3], v10
	v_cvt_f64_f32_e32 v[4:5], v4
	v_mul_f64 v[2:3], v[2:3], s[4:5]
	v_mul_f64 v[4:5], v[4:5], s[4:5]
	v_cvt_f32_f64_e32 v2, v[2:3]
	v_cvt_f32_f64_e32 v3, v[4:5]
	global_store_dwordx2 v[8:9], v[2:3], off
	global_load_dwordx2 v[8:9], v211, s[8:9] offset:432
	ds_read2_b64 v[2:5], v210 offset0:54 offset1:60
	s_waitcnt vmcnt(0) lgkmcnt(0)
	v_mul_f32_e32 v10, v3, v9
	v_mul_f32_e32 v9, v2, v9
	v_fmac_f32_e32 v10, v2, v8
	v_fma_f32 v8, v8, v3, -v9
	v_cvt_f64_f32_e32 v[2:3], v10
	v_cvt_f64_f32_e32 v[8:9], v8
	v_mul_f64 v[2:3], v[2:3], s[4:5]
	v_mul_f64 v[8:9], v[8:9], s[4:5]
	v_cvt_f32_f64_e32 v2, v[2:3]
	v_cvt_f32_f64_e32 v3, v[8:9]
	global_store_dwordx2 v[6:7], v[2:3], off
	global_load_dwordx2 v[2:3], v211, s[8:9] offset:480
	v_mad_u64_u32 v[6:7], s[6:7], s0, 48, v[6:7]
	v_add_u32_e32 v7, s2, v7
	s_waitcnt vmcnt(0)
	v_mul_f32_e32 v8, v5, v3
	v_mul_f32_e32 v3, v4, v3
	v_fmac_f32_e32 v8, v4, v2
	v_fma_f32 v4, v2, v5, -v3
	v_cvt_f64_f32_e32 v[2:3], v8
	v_cvt_f64_f32_e32 v[4:5], v4
	v_mul_f64 v[2:3], v[2:3], s[4:5]
	v_mul_f64 v[4:5], v[4:5], s[4:5]
	v_cvt_f32_f64_e32 v2, v[2:3]
	v_cvt_f32_f64_e32 v3, v[4:5]
	global_store_dwordx2 v[6:7], v[2:3], off
	global_load_dwordx2 v[8:9], v211, s[8:9] offset:528
	ds_read2_b64 v[2:5], v210 offset0:66 offset1:72
	v_mad_u64_u32 v[6:7], s[6:7], s0, 48, v[6:7]
	v_add_u32_e32 v7, s2, v7
	s_waitcnt vmcnt(0) lgkmcnt(0)
	v_mul_f32_e32 v10, v3, v9
	v_mul_f32_e32 v9, v2, v9
	v_fmac_f32_e32 v10, v2, v8
	v_fma_f32 v8, v8, v3, -v9
	v_cvt_f64_f32_e32 v[2:3], v10
	v_cvt_f64_f32_e32 v[8:9], v8
	v_mul_f64 v[2:3], v[2:3], s[4:5]
	v_mul_f64 v[8:9], v[8:9], s[4:5]
	v_cvt_f32_f64_e32 v2, v[2:3]
	v_cvt_f32_f64_e32 v3, v[8:9]
	global_store_dwordx2 v[6:7], v[2:3], off
	global_load_dwordx2 v[2:3], v211, s[8:9] offset:576
	v_mad_u64_u32 v[8:9], s[6:7], s0, v11, 0
	v_mov_b32_e32 v10, v9
	v_mad_u64_u32 v[10:11], s[6:7], s1, v11, v[10:11]
	v_mov_b32_e32 v9, v10
	v_lshl_add_u64 v[8:9], v[8:9], 3, v[0:1]
	v_mad_u64_u32 v[6:7], s[6:7], s0, v12, v[6:7]
	v_add_u32_e32 v7, s3, v7
	s_waitcnt vmcnt(0)
	v_mul_f32_e32 v10, v5, v3
	v_mul_f32_e32 v3, v4, v3
	v_fmac_f32_e32 v10, v4, v2
	v_fma_f32 v4, v2, v5, -v3
	v_cvt_f64_f32_e32 v[2:3], v10
	v_cvt_f64_f32_e32 v[4:5], v4
	v_mul_f64 v[2:3], v[2:3], s[4:5]
	v_mul_f64 v[4:5], v[4:5], s[4:5]
	v_cvt_f32_f64_e32 v2, v[2:3]
	v_cvt_f32_f64_e32 v3, v[4:5]
	global_store_dwordx2 v[8:9], v[2:3], off
	global_load_dwordx2 v[8:9], v211, s[8:9] offset:624
	ds_read2_b64 v[2:5], v210 offset0:78 offset1:84
	s_waitcnt vmcnt(0) lgkmcnt(0)
	v_mul_f32_e32 v10, v3, v9
	v_mul_f32_e32 v9, v2, v9
	v_fmac_f32_e32 v10, v2, v8
	v_fma_f32 v8, v8, v3, -v9
	v_cvt_f64_f32_e32 v[2:3], v10
	v_cvt_f64_f32_e32 v[8:9], v8
	v_mul_f64 v[2:3], v[2:3], s[4:5]
	v_mul_f64 v[8:9], v[8:9], s[4:5]
	v_cvt_f32_f64_e32 v2, v[2:3]
	v_cvt_f32_f64_e32 v3, v[8:9]
	global_store_dwordx2 v[6:7], v[2:3], off
	global_load_dwordx2 v[2:3], v211, s[8:9] offset:672
	v_mad_u64_u32 v[6:7], s[6:7], s0, 48, v[6:7]
	v_add_u32_e32 v7, s2, v7
	s_waitcnt vmcnt(0)
	v_mul_f32_e32 v8, v5, v3
	v_mul_f32_e32 v3, v4, v3
	v_fmac_f32_e32 v8, v4, v2
	v_fma_f32 v4, v2, v5, -v3
	v_cvt_f64_f32_e32 v[2:3], v8
	v_cvt_f64_f32_e32 v[4:5], v4
	v_mul_f64 v[2:3], v[2:3], s[4:5]
	v_mul_f64 v[4:5], v[4:5], s[4:5]
	v_cvt_f32_f64_e32 v2, v[2:3]
	v_cvt_f32_f64_e32 v3, v[4:5]
	global_store_dwordx2 v[6:7], v[2:3], off
	global_load_dwordx2 v[8:9], v211, s[8:9] offset:720
	ds_read2_b64 v[2:5], v210 offset0:90 offset1:96
	v_mad_u64_u32 v[6:7], s[6:7], s0, 48, v[6:7]
	v_add_u32_e32 v7, s2, v7
	s_waitcnt vmcnt(0) lgkmcnt(0)
	v_mul_f32_e32 v10, v3, v9
	v_mul_f32_e32 v9, v2, v9
	v_fmac_f32_e32 v10, v2, v8
	v_fma_f32 v8, v8, v3, -v9
	v_cvt_f64_f32_e32 v[2:3], v10
	v_cvt_f64_f32_e32 v[8:9], v8
	v_mul_f64 v[2:3], v[2:3], s[4:5]
	v_mul_f64 v[8:9], v[8:9], s[4:5]
	v_cvt_f32_f64_e32 v2, v[2:3]
	v_cvt_f32_f64_e32 v3, v[8:9]
	global_store_dwordx2 v[6:7], v[2:3], off
	global_load_dwordx2 v[2:3], v211, s[8:9] offset:768
	v_or_b32_e32 v9, 0x60, v225
	v_mad_u64_u32 v[6:7], s[2:3], s0, v9, 0
	v_mov_b32_e32 v8, v7
	v_mad_u64_u32 v[8:9], s[0:1], s1, v9, v[8:9]
	v_mov_b32_e32 v7, v8
	v_lshl_add_u64 v[0:1], v[6:7], 3, v[0:1]
	s_waitcnt vmcnt(0)
	v_mul_f32_e32 v8, v5, v3
	v_mul_f32_e32 v3, v4, v3
	v_fmac_f32_e32 v8, v4, v2
	v_fma_f32 v4, v2, v5, -v3
	v_cvt_f64_f32_e32 v[2:3], v8
	v_cvt_f64_f32_e32 v[4:5], v4
	v_mul_f64 v[2:3], v[2:3], s[4:5]
	v_mul_f64 v[4:5], v[4:5], s[4:5]
	v_cvt_f32_f64_e32 v2, v[2:3]
	v_cvt_f32_f64_e32 v3, v[4:5]
	global_store_dwordx2 v[0:1], v[2:3], off
.LBB0_15:
	s_endpgm
	.section	.rodata,"a",@progbits
	.p2align	6, 0x0
	.amdhsa_kernel bluestein_single_fwd_len102_dim1_sp_op_CI_CI
		.amdhsa_group_segment_fixed_size 5712
		.amdhsa_private_segment_fixed_size 0
		.amdhsa_kernarg_size 104
		.amdhsa_user_sgpr_count 2
		.amdhsa_user_sgpr_dispatch_ptr 0
		.amdhsa_user_sgpr_queue_ptr 0
		.amdhsa_user_sgpr_kernarg_segment_ptr 1
		.amdhsa_user_sgpr_dispatch_id 0
		.amdhsa_user_sgpr_kernarg_preload_length 0
		.amdhsa_user_sgpr_kernarg_preload_offset 0
		.amdhsa_user_sgpr_private_segment_size 0
		.amdhsa_uses_dynamic_stack 0
		.amdhsa_enable_private_segment 0
		.amdhsa_system_sgpr_workgroup_id_x 1
		.amdhsa_system_sgpr_workgroup_id_y 0
		.amdhsa_system_sgpr_workgroup_id_z 0
		.amdhsa_system_sgpr_workgroup_info 0
		.amdhsa_system_vgpr_workitem_id 0
		.amdhsa_next_free_vgpr 282
		.amdhsa_next_free_sgpr 58
		.amdhsa_accum_offset 256
		.amdhsa_reserve_vcc 1
		.amdhsa_float_round_mode_32 0
		.amdhsa_float_round_mode_16_64 0
		.amdhsa_float_denorm_mode_32 3
		.amdhsa_float_denorm_mode_16_64 3
		.amdhsa_dx10_clamp 1
		.amdhsa_ieee_mode 1
		.amdhsa_fp16_overflow 0
		.amdhsa_tg_split 0
		.amdhsa_exception_fp_ieee_invalid_op 0
		.amdhsa_exception_fp_denorm_src 0
		.amdhsa_exception_fp_ieee_div_zero 0
		.amdhsa_exception_fp_ieee_overflow 0
		.amdhsa_exception_fp_ieee_underflow 0
		.amdhsa_exception_fp_ieee_inexact 0
		.amdhsa_exception_int_div_zero 0
	.end_amdhsa_kernel
	.text
.Lfunc_end0:
	.size	bluestein_single_fwd_len102_dim1_sp_op_CI_CI, .Lfunc_end0-bluestein_single_fwd_len102_dim1_sp_op_CI_CI
                                        ; -- End function
	.section	.AMDGPU.csdata,"",@progbits
; Kernel info:
; codeLenInByte = 13484
; NumSgprs: 64
; NumVgprs: 256
; NumAgprs: 26
; TotalNumVgprs: 282
; ScratchSize: 0
; MemoryBound: 0
; FloatMode: 240
; IeeeMode: 1
; LDSByteSize: 5712 bytes/workgroup (compile time only)
; SGPRBlocks: 7
; VGPRBlocks: 35
; NumSGPRsForWavesPerEU: 64
; NumVGPRsForWavesPerEU: 282
; AccumOffset: 256
; Occupancy: 1
; WaveLimiterHint : 1
; COMPUTE_PGM_RSRC2:SCRATCH_EN: 0
; COMPUTE_PGM_RSRC2:USER_SGPR: 2
; COMPUTE_PGM_RSRC2:TRAP_HANDLER: 0
; COMPUTE_PGM_RSRC2:TGID_X_EN: 1
; COMPUTE_PGM_RSRC2:TGID_Y_EN: 0
; COMPUTE_PGM_RSRC2:TGID_Z_EN: 0
; COMPUTE_PGM_RSRC2:TIDIG_COMP_CNT: 0
; COMPUTE_PGM_RSRC3_GFX90A:ACCUM_OFFSET: 63
; COMPUTE_PGM_RSRC3_GFX90A:TG_SPLIT: 0
	.text
	.p2alignl 6, 3212836864
	.fill 256, 4, 3212836864
	.type	__hip_cuid_feb804358ba9f225,@object ; @__hip_cuid_feb804358ba9f225
	.section	.bss,"aw",@nobits
	.globl	__hip_cuid_feb804358ba9f225
__hip_cuid_feb804358ba9f225:
	.byte	0                               ; 0x0
	.size	__hip_cuid_feb804358ba9f225, 1

	.ident	"AMD clang version 19.0.0git (https://github.com/RadeonOpenCompute/llvm-project roc-6.4.0 25133 c7fe45cf4b819c5991fe208aaa96edf142730f1d)"
	.section	".note.GNU-stack","",@progbits
	.addrsig
	.addrsig_sym __hip_cuid_feb804358ba9f225
	.amdgpu_metadata
---
amdhsa.kernels:
  - .agpr_count:     26
    .args:
      - .actual_access:  read_only
        .address_space:  global
        .offset:         0
        .size:           8
        .value_kind:     global_buffer
      - .actual_access:  read_only
        .address_space:  global
        .offset:         8
        .size:           8
        .value_kind:     global_buffer
      - .actual_access:  read_only
        .address_space:  global
        .offset:         16
        .size:           8
        .value_kind:     global_buffer
      - .actual_access:  read_only
        .address_space:  global
        .offset:         24
        .size:           8
        .value_kind:     global_buffer
      - .actual_access:  read_only
        .address_space:  global
        .offset:         32
        .size:           8
        .value_kind:     global_buffer
      - .offset:         40
        .size:           8
        .value_kind:     by_value
      - .address_space:  global
        .offset:         48
        .size:           8
        .value_kind:     global_buffer
      - .address_space:  global
        .offset:         56
        .size:           8
        .value_kind:     global_buffer
      - .address_space:  global
        .offset:         64
        .size:           8
        .value_kind:     global_buffer
      - .address_space:  global
        .offset:         72
        .size:           8
        .value_kind:     global_buffer
      - .offset:         80
        .size:           4
        .value_kind:     by_value
      - .address_space:  global
        .offset:         88
        .size:           8
        .value_kind:     global_buffer
      - .address_space:  global
        .offset:         96
        .size:           8
        .value_kind:     global_buffer
    .group_segment_fixed_size: 5712
    .kernarg_segment_align: 8
    .kernarg_segment_size: 104
    .language:       OpenCL C
    .language_version:
      - 2
      - 0
    .max_flat_workgroup_size: 119
    .name:           bluestein_single_fwd_len102_dim1_sp_op_CI_CI
    .private_segment_fixed_size: 0
    .sgpr_count:     64
    .sgpr_spill_count: 0
    .symbol:         bluestein_single_fwd_len102_dim1_sp_op_CI_CI.kd
    .uniform_work_group_size: 1
    .uses_dynamic_stack: false
    .vgpr_count:     282
    .vgpr_spill_count: 0
    .wavefront_size: 64
amdhsa.target:   amdgcn-amd-amdhsa--gfx950
amdhsa.version:
  - 1
  - 2
...

	.end_amdgpu_metadata
